;; amdgpu-corpus repo=zjin-lcf/HeCBench kind=compiled arch=gfx1250 opt=O3
	.amdgcn_target "amdgcn-amd-amdhsa--gfx1250"
	.amdhsa_code_object_version 6
	.text
	.protected	_Z4initv                ; -- Begin function _Z4initv
	.globl	_Z4initv
	.p2align	8
	.type	_Z4initv,@function
_Z4initv:                               ; @_Z4initv
; %bb.0:
	s_bfe_u32 s0, ttmp6, 0x4000c
	s_and_b32 s2, ttmp6, 15
	s_add_co_i32 s0, s0, 1
	s_getreg_b32 s3, hwreg(HW_REG_IB_STS2, 6, 4)
	s_mul_i32 s0, ttmp9, s0
	s_and_b32 s1, s5, 0xffff
	s_add_co_i32 s2, s2, s0
	s_cmp_eq_u32 s3, 0
	s_cselect_b32 s0, ttmp9, s2
	s_delay_alu instid0(SALU_CYCLE_1) | instskip(SKIP_1) | instid1(VALU_DEP_1)
	v_mad_u32 v0, s0, s1, v0
	s_mov_b32 s0, exec_lo
	v_cmpx_gt_i32_e32 0x400, v0
	s_cbranch_execz .LBB0_2
; %bb.1:
	v_dual_mov_b32 v1, 0 :: v_dual_mov_b32 v2, -1
	s_get_pc_i64 s[0:1]
	s_add_nc_u64 s[0:1], s[0:1], column_of_star_at_row@rel64+4
	s_get_pc_i64 s[2:3]
	s_add_nc_u64 s[2:3], s[2:3], cover_row@rel64+4
	s_get_pc_i64 s[4:5]
	s_add_nc_u64 s[4:5], s[4:5], cover_column@rel64+4
	s_get_pc_i64 s[6:7]
	s_add_nc_u64 s[6:7], s[6:7], row_of_star_at_column@rel64+4
	s_clause 0x3
	global_store_b32 v0, v1, s[2:3] scale_offset
	global_store_b32 v0, v2, s[0:1] scale_offset
	;; [unrolled: 1-line block ×4, first 2 shown]
.LBB0_2:
	s_endpgm
	.section	.rodata,"a",@progbits
	.p2align	6, 0x0
	.amdhsa_kernel _Z4initv
		.amdhsa_group_segment_fixed_size 0
		.amdhsa_private_segment_fixed_size 0
		.amdhsa_kernarg_size 256
		.amdhsa_user_sgpr_count 6
		.amdhsa_user_sgpr_dispatch_ptr 0
		.amdhsa_user_sgpr_queue_ptr 0
		.amdhsa_user_sgpr_kernarg_segment_ptr 1
		.amdhsa_user_sgpr_dispatch_id 0
		.amdhsa_user_sgpr_kernarg_preload_length 4
		.amdhsa_user_sgpr_kernarg_preload_offset 0
		.amdhsa_user_sgpr_private_segment_size 0
		.amdhsa_wavefront_size32 1
		.amdhsa_uses_dynamic_stack 0
		.amdhsa_enable_private_segment 0
		.amdhsa_system_sgpr_workgroup_id_x 1
		.amdhsa_system_sgpr_workgroup_id_y 0
		.amdhsa_system_sgpr_workgroup_id_z 0
		.amdhsa_system_sgpr_workgroup_info 0
		.amdhsa_system_vgpr_workitem_id 0
		.amdhsa_next_free_vgpr 3
		.amdhsa_next_free_sgpr 8
		.amdhsa_named_barrier_count 0
		.amdhsa_reserve_vcc 0
		.amdhsa_float_round_mode_32 0
		.amdhsa_float_round_mode_16_64 0
		.amdhsa_float_denorm_mode_32 3
		.amdhsa_float_denorm_mode_16_64 3
		.amdhsa_fp16_overflow 0
		.amdhsa_memory_ordered 1
		.amdhsa_forward_progress 1
		.amdhsa_inst_pref_size 2
		.amdhsa_round_robin_scheduling 0
		.amdhsa_exception_fp_ieee_invalid_op 0
		.amdhsa_exception_fp_denorm_src 0
		.amdhsa_exception_fp_ieee_div_zero 0
		.amdhsa_exception_fp_ieee_overflow 0
		.amdhsa_exception_fp_ieee_underflow 0
		.amdhsa_exception_fp_ieee_inexact 0
		.amdhsa_exception_int_div_zero 0
	.end_amdhsa_kernel
	.text
.Lfunc_end0:
	.size	_Z4initv, .Lfunc_end0-_Z4initv
                                        ; -- End function
	.set _Z4initv.num_vgpr, 3
	.set _Z4initv.num_agpr, 0
	.set _Z4initv.numbered_sgpr, 8
	.set _Z4initv.num_named_barrier, 0
	.set _Z4initv.private_seg_size, 0
	.set _Z4initv.uses_vcc, 0
	.set _Z4initv.uses_flat_scratch, 0
	.set _Z4initv.has_dyn_sized_stack, 0
	.set _Z4initv.has_recursion, 0
	.set _Z4initv.has_indirect_call, 0
	.section	.AMDGPU.csdata,"",@progbits
; Kernel info:
; codeLenInByte = 200
; TotalNumSgprs: 8
; NumVgprs: 3
; ScratchSize: 0
; MemoryBound: 0
; FloatMode: 240
; IeeeMode: 1
; LDSByteSize: 0 bytes/workgroup (compile time only)
; SGPRBlocks: 0
; VGPRBlocks: 0
; NumSGPRsForWavesPerEU: 8
; NumVGPRsForWavesPerEU: 3
; NamedBarCnt: 0
; Occupancy: 16
; WaveLimiterHint : 0
; COMPUTE_PGM_RSRC2:SCRATCH_EN: 0
; COMPUTE_PGM_RSRC2:USER_SGPR: 6
; COMPUTE_PGM_RSRC2:TRAP_HANDLER: 0
; COMPUTE_PGM_RSRC2:TGID_X_EN: 1
; COMPUTE_PGM_RSRC2:TGID_Y_EN: 0
; COMPUTE_PGM_RSRC2:TGID_Z_EN: 0
; COMPUTE_PGM_RSRC2:TIDIG_COMP_CNT: 0
	.text
	.protected	_Z16calc_min_in_rowsv   ; -- Begin function _Z16calc_min_in_rowsv
	.globl	_Z16calc_min_in_rowsv
	.p2align	8
	.type	_Z16calc_min_in_rowsv,@function
_Z16calc_min_in_rowsv:                  ; @_Z16calc_min_in_rowsv
; %bb.0:
	s_bfe_u32 s0, ttmp6, 0x4000c
	s_and_b32 s1, ttmp6, 15
	s_add_co_i32 s0, s0, 1
	s_getreg_b32 s2, hwreg(HW_REG_IB_STS2, 6, 4)
	s_mul_i32 s0, ttmp9, s0
	v_lshlrev_b32_e32 v1, 8, v0
	s_add_co_i32 s1, s1, s0
	s_cmp_eq_u32 s2, 0
	s_mov_b32 s3, exec_lo
	s_cselect_b32 s0, ttmp9, s1
	v_and_b32_e32 v1, 0x3fc00, v1
	s_lshl_b32 s2, s0, 2
	s_delay_alu instid0(SALU_CYCLE_1) | instskip(NEXT) | instid1(VALU_DEP_1)
	v_and_or_b32 v2, v0, 3, s2
	v_add_nc_u32_e32 v2, v2, v1
	v_bfrev_b32_e32 v1, -2
	s_delay_alu instid0(VALU_DEP_2)
	v_cmpx_gt_u32_e32 0x100000, v2
	s_cbranch_execz .LBB1_10
; %bb.1:
	v_sub_nc_u32_e64 v1, 0xf0000, v2 clamp
	s_mov_b32 s5, -1
	s_mov_b32 s4, exec_lo
	s_get_pc_i64 s[0:1]
	s_add_nc_u64 s[0:1], s[0:1], slack@rel64+4
	v_add_nc_u32_e32 v3, 0xffff, v1
	v_bfrev_b32_e32 v1, -2
	s_delay_alu instid0(VALU_DEP_2)
	v_cmpx_lt_u32_e32 0xffff, v3
	s_cbranch_execz .LBB1_5
; %bb.2:
	v_dual_lshrrev_b32 v1, 16, v3 :: v_dual_mov_b32 v5, 0
	v_add_nc_u32_e32 v3, 0x10000, v2
	v_bfrev_b32_e32 v9, -2
	s_mov_b32 s5, 0
	s_delay_alu instid0(VALU_DEP_3) | instskip(NEXT) | instid1(VALU_DEP_3)
	v_add_nc_u32_e32 v1, 1, v1
	v_mov_b64_e32 v[6:7], v[2:3]
	v_bfrev_b32_e32 v3, -2
	s_delay_alu instid0(VALU_DEP_3) | instskip(NEXT) | instid1(VALU_DEP_1)
	v_and_b32_e32 v8, 62, v1
	v_mov_b32_e32 v10, v8
.LBB1_3:                                ; =>This Inner Loop Header: Depth=1
	s_delay_alu instid0(VALU_DEP_1) | instskip(SKIP_1) | instid1(VALU_DEP_2)
	v_dual_mov_b32 v4, v6 :: v_dual_add_nc_u32 v10, -2, v10
	v_add_nc_u32_e32 v6, 0x20000, v6
	v_lshl_add_u64 v[12:13], v[4:5], 2, s[0:1]
	v_dual_mov_b32 v4, v7 :: v_dual_add_nc_u32 v7, 0x20000, v7
	s_delay_alu instid0(VALU_DEP_4) | instskip(NEXT) | instid1(VALU_DEP_2)
	v_cmp_eq_u32_e32 vcc_lo, 0, v10
	v_lshl_add_u64 v[14:15], v[4:5], 2, s[0:1]
	s_clause 0x1
	global_load_b32 v4, v[12:13], off
	global_load_b32 v11, v[14:15], off
	s_or_b32 s5, vcc_lo, s5
	s_wait_loadcnt 0x1
	v_min_i32_e32 v9, v9, v4
	s_wait_loadcnt 0x0
	v_min_i32_e32 v3, v3, v11
	s_and_not1_b32 exec_lo, exec_lo, s5
	s_cbranch_execnz .LBB1_3
; %bb.4:
	s_or_b32 exec_lo, exec_lo, s5
	v_cmp_ne_u32_e32 vcc_lo, v1, v8
	v_lshl_add_u32 v2, v8, 16, v2
	v_min_i32_e32 v1, v9, v3
	s_or_not1_b32 s5, vcc_lo, exec_lo
.LBB1_5:
	s_or_b32 exec_lo, exec_lo, s4
	s_and_saveexec_b32 s4, s5
	s_cbranch_execz .LBB1_9
; %bb.6:
	v_dual_mov_b32 v3, 0 :: v_dual_add_nc_u32 v4, 0xffff0000, v2
	s_delay_alu instid0(VALU_DEP_1)
	v_lshl_add_u64 v[2:3], v[2:3], 2, s[0:1]
	s_mov_b32 s0, 0
.LBB1_7:                                ; =>This Inner Loop Header: Depth=1
	global_load_b32 v5, v[2:3], off
	v_add_nc_u32_e32 v4, 0x10000, v4
	s_wait_xcnt 0x0
	v_add_nc_u64_e32 v[2:3], 0x40000, v[2:3]
	s_delay_alu instid0(VALU_DEP_2)
	v_cmp_lt_u32_e32 vcc_lo, 0xeffff, v4
	s_or_b32 s0, vcc_lo, s0
	s_wait_loadcnt 0x0
	v_min_i32_e32 v1, v1, v5
	s_and_not1_b32 exec_lo, exec_lo, s0
	s_cbranch_execnz .LBB1_7
; %bb.8:
	s_or_b32 exec_lo, exec_lo, s0
.LBB1_9:
	s_delay_alu instid0(SALU_CYCLE_1)
	s_or_b32 exec_lo, exec_lo, s4
.LBB1_10:
	s_delay_alu instid0(SALU_CYCLE_1)
	s_or_b32 exec_lo, exec_lo, s3
	v_lshlrev_b32_e32 v2, 2, v0
	s_mov_b32 s0, exec_lo
	ds_store_b32 v2, v1
	s_wait_dscnt 0x0
	s_barrier_signal -1
	s_barrier_wait -1
	v_cmpx_gt_u32_e32 0x80, v0
	s_cbranch_execz .LBB1_12
; %bb.11:
	ds_load_2addr_stride64_b32 v[4:5], v2 offset1:2
	s_wait_dscnt 0x0
	v_min_i32_e32 v1, v4, v5
	ds_store_b32 v2, v1
.LBB1_12:
	s_or_b32 exec_lo, exec_lo, s0
	s_delay_alu instid0(SALU_CYCLE_1)
	s_mov_b32 s0, exec_lo
	s_wait_dscnt 0x0
	s_barrier_signal -1
	s_barrier_wait -1
	v_cmpx_gt_u32_e32 64, v0
	s_cbranch_execz .LBB1_14
; %bb.13:
	ds_load_2addr_stride64_b32 v[4:5], v2 offset1:1
	s_wait_dscnt 0x0
	v_min_i32_e32 v1, v4, v5
	ds_store_b32 v2, v1
.LBB1_14:
	s_or_b32 exec_lo, exec_lo, s0
	s_delay_alu instid0(SALU_CYCLE_1)
	s_mov_b32 s0, exec_lo
	s_wait_dscnt 0x0
	s_barrier_signal -1
	s_barrier_wait -1
	v_cmpx_gt_u32_e32 32, v0
	s_cbranch_execz .LBB1_16
; %bb.15:
	s_mov_b64 s[4:5], src_shared_base
	s_delay_alu instid0(SALU_CYCLE_1)
	v_dual_mov_b32 v3, s5 :: v_dual_add_nc_u32 v4, 0x80, v2
	v_mov_b32_e32 v5, s5
	flat_load_b32 v1, v[2:3] scope:SCOPE_SYS
	s_wait_loadcnt 0x0
	flat_load_b32 v6, v[4:5] scope:SCOPE_SYS
	s_wait_loadcnt 0x0
	s_wait_xcnt 0x0
	v_add_nc_u32_e32 v4, 64, v2
	s_wait_dscnt 0x0
	v_min_i32_e32 v1, v1, v6
	flat_store_b32 v[2:3], v1 scope:SCOPE_SYS
	s_wait_storecnt 0x0
	flat_load_b32 v1, v[2:3] scope:SCOPE_SYS
	s_wait_loadcnt 0x0
	flat_load_b32 v6, v[4:5] scope:SCOPE_SYS
	s_wait_loadcnt 0x0
	s_wait_xcnt 0x0
	v_add_nc_u32_e32 v4, 32, v2
	s_wait_dscnt 0x0
	v_min_i32_e32 v1, v1, v6
	flat_store_b32 v[2:3], v1 scope:SCOPE_SYS
	s_wait_storecnt 0x0
	;; [unrolled: 10-line block ×3, first 2 shown]
	flat_load_b32 v1, v[2:3] scope:SCOPE_SYS
	s_wait_loadcnt 0x0
	flat_load_b32 v6, v[4:5] scope:SCOPE_SYS
	s_wait_loadcnt_dscnt 0x0
	v_min_i32_e32 v1, v1, v6
	flat_store_b32 v[2:3], v1 scope:SCOPE_SYS
	s_wait_storecnt 0x0
.LBB1_16:
	s_wait_xcnt 0x0
	s_or_b32 exec_lo, exec_lo, s0
	s_delay_alu instid0(SALU_CYCLE_1)
	s_mov_b32 s0, exec_lo
	v_cmpx_gt_u32_e32 4, v0
	s_cbranch_execz .LBB1_18
; %bb.17:
	ds_load_b32 v1, v2
	v_or_b32_e32 v0, s2, v0
	s_get_pc_i64 s[0:1]
	s_add_nc_u64 s[0:1], s[0:1], min_in_rows@rel64+4
	s_wait_dscnt 0x0
	global_store_b32 v0, v1, s[0:1] scale_offset
.LBB1_18:
	s_endpgm
	.section	.rodata,"a",@progbits
	.p2align	6, 0x0
	.amdhsa_kernel _Z16calc_min_in_rowsv
		.amdhsa_group_segment_fixed_size 1024
		.amdhsa_private_segment_fixed_size 0
		.amdhsa_kernarg_size 0
		.amdhsa_user_sgpr_count 0
		.amdhsa_user_sgpr_dispatch_ptr 0
		.amdhsa_user_sgpr_queue_ptr 0
		.amdhsa_user_sgpr_kernarg_segment_ptr 0
		.amdhsa_user_sgpr_dispatch_id 0
		.amdhsa_user_sgpr_kernarg_preload_length 0
		.amdhsa_user_sgpr_kernarg_preload_offset 0
		.amdhsa_user_sgpr_private_segment_size 0
		.amdhsa_wavefront_size32 1
		.amdhsa_uses_dynamic_stack 0
		.amdhsa_enable_private_segment 0
		.amdhsa_system_sgpr_workgroup_id_x 1
		.amdhsa_system_sgpr_workgroup_id_y 0
		.amdhsa_system_sgpr_workgroup_id_z 0
		.amdhsa_system_sgpr_workgroup_info 0
		.amdhsa_system_vgpr_workitem_id 0
		.amdhsa_next_free_vgpr 16
		.amdhsa_next_free_sgpr 6
		.amdhsa_named_barrier_count 0
		.amdhsa_reserve_vcc 1
		.amdhsa_float_round_mode_32 0
		.amdhsa_float_round_mode_16_64 0
		.amdhsa_float_denorm_mode_32 3
		.amdhsa_float_denorm_mode_16_64 3
		.amdhsa_fp16_overflow 0
		.amdhsa_memory_ordered 1
		.amdhsa_forward_progress 1
		.amdhsa_inst_pref_size 8
		.amdhsa_round_robin_scheduling 0
		.amdhsa_exception_fp_ieee_invalid_op 0
		.amdhsa_exception_fp_denorm_src 0
		.amdhsa_exception_fp_ieee_div_zero 0
		.amdhsa_exception_fp_ieee_overflow 0
		.amdhsa_exception_fp_ieee_underflow 0
		.amdhsa_exception_fp_ieee_inexact 0
		.amdhsa_exception_int_div_zero 0
	.end_amdhsa_kernel
	.text
.Lfunc_end1:
	.size	_Z16calc_min_in_rowsv, .Lfunc_end1-_Z16calc_min_in_rowsv
                                        ; -- End function
	.set _Z16calc_min_in_rowsv.num_vgpr, 16
	.set _Z16calc_min_in_rowsv.num_agpr, 0
	.set _Z16calc_min_in_rowsv.numbered_sgpr, 6
	.set _Z16calc_min_in_rowsv.num_named_barrier, 0
	.set _Z16calc_min_in_rowsv.private_seg_size, 0
	.set _Z16calc_min_in_rowsv.uses_vcc, 1
	.set _Z16calc_min_in_rowsv.uses_flat_scratch, 0
	.set _Z16calc_min_in_rowsv.has_dyn_sized_stack, 0
	.set _Z16calc_min_in_rowsv.has_recursion, 0
	.set _Z16calc_min_in_rowsv.has_indirect_call, 0
	.section	.AMDGPU.csdata,"",@progbits
; Kernel info:
; codeLenInByte = 968
; TotalNumSgprs: 8
; NumVgprs: 16
; ScratchSize: 0
; MemoryBound: 0
; FloatMode: 240
; IeeeMode: 1
; LDSByteSize: 1024 bytes/workgroup (compile time only)
; SGPRBlocks: 0
; VGPRBlocks: 0
; NumSGPRsForWavesPerEU: 8
; NumVGPRsForWavesPerEU: 16
; NamedBarCnt: 0
; Occupancy: 16
; WaveLimiterHint : 0
; COMPUTE_PGM_RSRC2:SCRATCH_EN: 0
; COMPUTE_PGM_RSRC2:USER_SGPR: 0
; COMPUTE_PGM_RSRC2:TRAP_HANDLER: 0
; COMPUTE_PGM_RSRC2:TGID_X_EN: 1
; COMPUTE_PGM_RSRC2:TGID_Y_EN: 0
; COMPUTE_PGM_RSRC2:TGID_Z_EN: 0
; COMPUTE_PGM_RSRC2:TIDIG_COMP_CNT: 0
	.text
	.protected	_Z16calc_min_in_colsv   ; -- Begin function _Z16calc_min_in_colsv
	.globl	_Z16calc_min_in_colsv
	.p2align	8
	.type	_Z16calc_min_in_colsv,@function
_Z16calc_min_in_colsv:                  ; @_Z16calc_min_in_colsv
; %bb.0:
	s_bfe_u32 s0, ttmp6, 0x4000c
	s_and_b32 s1, ttmp6, 15
	s_add_co_i32 s0, s0, 1
	s_getreg_b32 s2, hwreg(HW_REG_IB_STS2, 6, 4)
	s_mul_i32 s0, ttmp9, s0
	v_bfrev_b32_e32 v1, -2
	s_add_co_i32 s1, s1, s0
	s_cmp_eq_u32 s2, 0
	s_mov_b32 s3, 0
	s_cselect_b32 s0, ttmp9, s1
	s_delay_alu instid0(SALU_CYCLE_1) | instskip(SKIP_3) | instid1(VALU_DEP_1)
	s_lshl_b32 s2, s0, 2
	s_get_pc_i64 s[0:1]
	s_add_nc_u64 s[0:1], s[0:1], slack@rel64+4
	v_and_or_b32 v2, v0, 3, s2
	v_dual_lshrrev_b32 v3, 2, v0 :: v_dual_lshlrev_b32 v2, 10, v2
.LBB2_1:                                ; =>This Inner Loop Header: Depth=1
	s_delay_alu instid0(VALU_DEP_1)
	v_dual_add_nc_u32 v4, v2, v3 :: v_dual_add_nc_u32 v5, 64, v3
	v_cmp_lt_u32_e32 vcc_lo, 0x3bf, v3
	global_load_b32 v4, v4, s[0:1] scale_offset
	v_mov_b32_e32 v3, v5
	s_or_b32 s3, vcc_lo, s3
	s_wait_loadcnt 0x0
	v_min_i32_e32 v1, v1, v4
	s_and_not1_b32 exec_lo, exec_lo, s3
	s_cbranch_execnz .LBB2_1
; %bb.2:
	s_or_b32 exec_lo, exec_lo, s3
	v_lshlrev_b32_e32 v2, 2, v0
	s_mov_b32 s0, exec_lo
	ds_store_b32 v2, v1
	s_wait_dscnt 0x0
	s_barrier_signal -1
	s_barrier_wait -1
	v_cmpx_gt_u32_e32 0x80, v0
	s_cbranch_execz .LBB2_4
; %bb.3:
	ds_load_2addr_stride64_b32 v[4:5], v2 offset1:2
	s_wait_dscnt 0x0
	v_min_i32_e32 v1, v4, v5
	ds_store_b32 v2, v1
.LBB2_4:
	s_or_b32 exec_lo, exec_lo, s0
	s_delay_alu instid0(SALU_CYCLE_1)
	s_mov_b32 s0, exec_lo
	s_wait_dscnt 0x0
	s_barrier_signal -1
	s_barrier_wait -1
	v_cmpx_gt_u32_e32 64, v0
	s_cbranch_execz .LBB2_6
; %bb.5:
	ds_load_2addr_stride64_b32 v[4:5], v2 offset1:1
	s_wait_dscnt 0x0
	v_min_i32_e32 v1, v4, v5
	ds_store_b32 v2, v1
.LBB2_6:
	s_or_b32 exec_lo, exec_lo, s0
	s_delay_alu instid0(SALU_CYCLE_1)
	s_mov_b32 s0, exec_lo
	s_wait_dscnt 0x0
	s_barrier_signal -1
	s_barrier_wait -1
	v_cmpx_gt_u32_e32 32, v0
	s_cbranch_execz .LBB2_8
; %bb.7:
	s_mov_b64 s[4:5], src_shared_base
	s_delay_alu instid0(SALU_CYCLE_1)
	v_dual_mov_b32 v3, s5 :: v_dual_add_nc_u32 v4, 0x80, v2
	v_mov_b32_e32 v5, s5
	flat_load_b32 v1, v[2:3] scope:SCOPE_SYS
	s_wait_loadcnt 0x0
	flat_load_b32 v6, v[4:5] scope:SCOPE_SYS
	s_wait_loadcnt 0x0
	s_wait_xcnt 0x0
	v_add_nc_u32_e32 v4, 64, v2
	s_wait_dscnt 0x0
	v_min_i32_e32 v1, v1, v6
	flat_store_b32 v[2:3], v1 scope:SCOPE_SYS
	s_wait_storecnt 0x0
	flat_load_b32 v1, v[2:3] scope:SCOPE_SYS
	s_wait_loadcnt 0x0
	flat_load_b32 v6, v[4:5] scope:SCOPE_SYS
	s_wait_loadcnt 0x0
	s_wait_xcnt 0x0
	v_add_nc_u32_e32 v4, 32, v2
	s_wait_dscnt 0x0
	v_min_i32_e32 v1, v1, v6
	flat_store_b32 v[2:3], v1 scope:SCOPE_SYS
	s_wait_storecnt 0x0
	;; [unrolled: 10-line block ×3, first 2 shown]
	flat_load_b32 v1, v[2:3] scope:SCOPE_SYS
	s_wait_loadcnt 0x0
	flat_load_b32 v6, v[4:5] scope:SCOPE_SYS
	s_wait_loadcnt_dscnt 0x0
	v_min_i32_e32 v1, v1, v6
	flat_store_b32 v[2:3], v1 scope:SCOPE_SYS
	s_wait_storecnt 0x0
.LBB2_8:
	s_wait_xcnt 0x0
	s_or_b32 exec_lo, exec_lo, s0
	s_delay_alu instid0(SALU_CYCLE_1)
	s_mov_b32 s0, exec_lo
	v_cmpx_gt_u32_e32 4, v0
	s_cbranch_execz .LBB2_10
; %bb.9:
	ds_load_b32 v1, v2
	v_or_b32_e32 v0, s2, v0
	s_get_pc_i64 s[0:1]
	s_add_nc_u64 s[0:1], s[0:1], min_in_cols@rel64+4
	s_wait_dscnt 0x0
	global_store_b32 v0, v1, s[0:1] scale_offset
.LBB2_10:
	s_endpgm
	.section	.rodata,"a",@progbits
	.p2align	6, 0x0
	.amdhsa_kernel _Z16calc_min_in_colsv
		.amdhsa_group_segment_fixed_size 1024
		.amdhsa_private_segment_fixed_size 0
		.amdhsa_kernarg_size 0
		.amdhsa_user_sgpr_count 0
		.amdhsa_user_sgpr_dispatch_ptr 0
		.amdhsa_user_sgpr_queue_ptr 0
		.amdhsa_user_sgpr_kernarg_segment_ptr 0
		.amdhsa_user_sgpr_dispatch_id 0
		.amdhsa_user_sgpr_kernarg_preload_length 0
		.amdhsa_user_sgpr_kernarg_preload_offset 0
		.amdhsa_user_sgpr_private_segment_size 0
		.amdhsa_wavefront_size32 1
		.amdhsa_uses_dynamic_stack 0
		.amdhsa_enable_private_segment 0
		.amdhsa_system_sgpr_workgroup_id_x 1
		.amdhsa_system_sgpr_workgroup_id_y 0
		.amdhsa_system_sgpr_workgroup_id_z 0
		.amdhsa_system_sgpr_workgroup_info 0
		.amdhsa_system_vgpr_workitem_id 0
		.amdhsa_next_free_vgpr 7
		.amdhsa_next_free_sgpr 6
		.amdhsa_named_barrier_count 0
		.amdhsa_reserve_vcc 1
		.amdhsa_float_round_mode_32 0
		.amdhsa_float_round_mode_16_64 0
		.amdhsa_float_denorm_mode_32 3
		.amdhsa_float_denorm_mode_16_64 3
		.amdhsa_fp16_overflow 0
		.amdhsa_memory_ordered 1
		.amdhsa_forward_progress 1
		.amdhsa_inst_pref_size 6
		.amdhsa_round_robin_scheduling 0
		.amdhsa_exception_fp_ieee_invalid_op 0
		.amdhsa_exception_fp_denorm_src 0
		.amdhsa_exception_fp_ieee_div_zero 0
		.amdhsa_exception_fp_ieee_overflow 0
		.amdhsa_exception_fp_ieee_underflow 0
		.amdhsa_exception_fp_ieee_inexact 0
		.amdhsa_exception_int_div_zero 0
	.end_amdhsa_kernel
	.text
.Lfunc_end2:
	.size	_Z16calc_min_in_colsv, .Lfunc_end2-_Z16calc_min_in_colsv
                                        ; -- End function
	.set _Z16calc_min_in_colsv.num_vgpr, 7
	.set _Z16calc_min_in_colsv.num_agpr, 0
	.set _Z16calc_min_in_colsv.numbered_sgpr, 6
	.set _Z16calc_min_in_colsv.num_named_barrier, 0
	.set _Z16calc_min_in_colsv.private_seg_size, 0
	.set _Z16calc_min_in_colsv.uses_vcc, 1
	.set _Z16calc_min_in_colsv.uses_flat_scratch, 0
	.set _Z16calc_min_in_colsv.has_dyn_sized_stack, 0
	.set _Z16calc_min_in_colsv.has_recursion, 0
	.set _Z16calc_min_in_colsv.has_indirect_call, 0
	.section	.AMDGPU.csdata,"",@progbits
; Kernel info:
; codeLenInByte = 644
; TotalNumSgprs: 8
; NumVgprs: 7
; ScratchSize: 0
; MemoryBound: 0
; FloatMode: 240
; IeeeMode: 1
; LDSByteSize: 1024 bytes/workgroup (compile time only)
; SGPRBlocks: 0
; VGPRBlocks: 0
; NumSGPRsForWavesPerEU: 8
; NumVGPRsForWavesPerEU: 7
; NamedBarCnt: 0
; Occupancy: 16
; WaveLimiterHint : 0
; COMPUTE_PGM_RSRC2:SCRATCH_EN: 0
; COMPUTE_PGM_RSRC2:USER_SGPR: 0
; COMPUTE_PGM_RSRC2:TRAP_HANDLER: 0
; COMPUTE_PGM_RSRC2:TGID_X_EN: 1
; COMPUTE_PGM_RSRC2:TGID_Y_EN: 0
; COMPUTE_PGM_RSRC2:TGID_Z_EN: 0
; COMPUTE_PGM_RSRC2:TIDIG_COMP_CNT: 0
	.text
	.protected	_Z14step_1_row_subv     ; -- Begin function _Z14step_1_row_subv
	.globl	_Z14step_1_row_subv
	.p2align	8
	.type	_Z14step_1_row_subv,@function
_Z14step_1_row_subv:                    ; @_Z14step_1_row_subv
; %bb.0:
	s_bfe_u32 s0, ttmp6, 0x4000c
	s_and_b32 s2, ttmp6, 15
	s_add_co_i32 s0, s0, 1
	s_getreg_b32 s3, hwreg(HW_REG_IB_STS2, 6, 4)
	s_mul_i32 s0, ttmp9, s0
	s_and_b32 s1, s5, 0xffff
	s_add_co_i32 s2, s2, s0
	s_cmp_eq_u32 s3, 0
	s_cselect_b32 s0, ttmp9, s2
	s_get_pc_i64 s[2:3]
	s_add_nc_u64 s[2:3], s[2:3], min_in_rows@rel64+4
	v_mad_u32 v0, s0, s1, v0
	s_get_pc_i64 s[0:1]
	s_add_nc_u64 s[0:1], s[0:1], slack@rel64+4
	s_delay_alu instid0(VALU_DEP_1)
	v_and_b32_e32 v1, 0x3ff, v0
	global_load_b32 v2, v0, s[0:1] scale_offset
	global_load_b32 v3, v1, s[2:3] scale_offset
	s_wait_loadcnt 0x0
	v_sub_nc_u32_e32 v1, v2, v3
	global_store_b32 v0, v1, s[0:1] scale_offset
	s_endpgm
	.section	.rodata,"a",@progbits
	.p2align	6, 0x0
	.amdhsa_kernel _Z14step_1_row_subv
		.amdhsa_group_segment_fixed_size 0
		.amdhsa_private_segment_fixed_size 0
		.amdhsa_kernarg_size 256
		.amdhsa_user_sgpr_count 6
		.amdhsa_user_sgpr_dispatch_ptr 0
		.amdhsa_user_sgpr_queue_ptr 0
		.amdhsa_user_sgpr_kernarg_segment_ptr 1
		.amdhsa_user_sgpr_dispatch_id 0
		.amdhsa_user_sgpr_kernarg_preload_length 4
		.amdhsa_user_sgpr_kernarg_preload_offset 0
		.amdhsa_user_sgpr_private_segment_size 0
		.amdhsa_wavefront_size32 1
		.amdhsa_uses_dynamic_stack 0
		.amdhsa_enable_private_segment 0
		.amdhsa_system_sgpr_workgroup_id_x 1
		.amdhsa_system_sgpr_workgroup_id_y 0
		.amdhsa_system_sgpr_workgroup_id_z 0
		.amdhsa_system_sgpr_workgroup_info 0
		.amdhsa_system_vgpr_workitem_id 0
		.amdhsa_next_free_vgpr 4
		.amdhsa_next_free_sgpr 6
		.amdhsa_named_barrier_count 0
		.amdhsa_reserve_vcc 0
		.amdhsa_float_round_mode_32 0
		.amdhsa_float_round_mode_16_64 0
		.amdhsa_float_denorm_mode_32 3
		.amdhsa_float_denorm_mode_16_64 3
		.amdhsa_fp16_overflow 0
		.amdhsa_memory_ordered 1
		.amdhsa_forward_progress 1
		.amdhsa_inst_pref_size 2
		.amdhsa_round_robin_scheduling 0
		.amdhsa_exception_fp_ieee_invalid_op 0
		.amdhsa_exception_fp_denorm_src 0
		.amdhsa_exception_fp_ieee_div_zero 0
		.amdhsa_exception_fp_ieee_overflow 0
		.amdhsa_exception_fp_ieee_underflow 0
		.amdhsa_exception_fp_ieee_inexact 0
		.amdhsa_exception_int_div_zero 0
	.end_amdhsa_kernel
	.text
.Lfunc_end3:
	.size	_Z14step_1_row_subv, .Lfunc_end3-_Z14step_1_row_subv
                                        ; -- End function
	.set _Z14step_1_row_subv.num_vgpr, 4
	.set _Z14step_1_row_subv.num_agpr, 0
	.set _Z14step_1_row_subv.numbered_sgpr, 6
	.set _Z14step_1_row_subv.num_named_barrier, 0
	.set _Z14step_1_row_subv.private_seg_size, 0
	.set _Z14step_1_row_subv.uses_vcc, 0
	.set _Z14step_1_row_subv.uses_flat_scratch, 0
	.set _Z14step_1_row_subv.has_dyn_sized_stack, 0
	.set _Z14step_1_row_subv.has_recursion, 0
	.set _Z14step_1_row_subv.has_indirect_call, 0
	.section	.AMDGPU.csdata,"",@progbits
; Kernel info:
; codeLenInByte = 144
; TotalNumSgprs: 6
; NumVgprs: 4
; ScratchSize: 0
; MemoryBound: 0
; FloatMode: 240
; IeeeMode: 1
; LDSByteSize: 0 bytes/workgroup (compile time only)
; SGPRBlocks: 0
; VGPRBlocks: 0
; NumSGPRsForWavesPerEU: 6
; NumVGPRsForWavesPerEU: 4
; NamedBarCnt: 0
; Occupancy: 16
; WaveLimiterHint : 0
; COMPUTE_PGM_RSRC2:SCRATCH_EN: 0
; COMPUTE_PGM_RSRC2:USER_SGPR: 6
; COMPUTE_PGM_RSRC2:TRAP_HANDLER: 0
; COMPUTE_PGM_RSRC2:TGID_X_EN: 1
; COMPUTE_PGM_RSRC2:TGID_Y_EN: 0
; COMPUTE_PGM_RSRC2:TGID_Z_EN: 0
; COMPUTE_PGM_RSRC2:TIDIG_COMP_CNT: 0
	.text
	.protected	_Z14step_1_col_subv     ; -- Begin function _Z14step_1_col_subv
	.globl	_Z14step_1_col_subv
	.p2align	8
	.type	_Z14step_1_col_subv,@function
_Z14step_1_col_subv:                    ; @_Z14step_1_col_subv
; %bb.0:
	s_bfe_u32 s0, ttmp6, 0x4000c
	s_and_b32 s2, ttmp6, 15
	s_add_co_i32 s0, s0, 1
	s_getreg_b32 s3, hwreg(HW_REG_IB_STS2, 6, 4)
	s_mul_i32 s0, ttmp9, s0
	s_and_b32 s1, s5, 0xffff
	s_add_co_i32 s2, s2, s0
	s_cmp_eq_u32 s3, 0
	s_cselect_b32 s0, ttmp9, s2
	s_get_pc_i64 s[2:3]
	s_add_nc_u64 s[2:3], s[2:3], min_in_cols@rel64+4
	v_mad_u32 v0, s0, s1, v0
	s_get_pc_i64 s[0:1]
	s_add_nc_u64 s[0:1], s[0:1], slack@rel64+4
	s_delay_alu instid0(VALU_DEP_1)
	v_ashrrev_i32_e32 v1, 10, v0
	global_load_b32 v2, v0, s[0:1] scale_offset
	global_load_b32 v3, v1, s[2:3] scale_offset
	s_wait_loadcnt 0x0
	v_dual_ashrrev_i32 v1, 31, v0 :: v_dual_sub_nc_u32 v2, v2, v3
	global_store_b32 v0, v2, s[0:1] scale_offset
	s_wait_xcnt 0x0
	s_mov_b32 s0, exec_lo
	v_cmpx_eq_u32_e32 0, v0
	s_cbranch_execz .LBB4_2
; %bb.1:
	s_get_pc_i64 s[2:3]
	s_add_nc_u64 s[2:3], s[2:3], zeros_size@rel64+4
	v_mov_b32_e32 v2, 0
	s_load_b64 s[2:3], s[2:3], 0x0
	s_wait_kmcnt 0x0
	global_store_b32 v2, v2, s[2:3]
.LBB4_2:
	s_wait_xcnt 0x0
	s_or_b32 exec_lo, exec_lo, s0
	s_delay_alu instid0(SALU_CYCLE_1)
	s_mov_b32 s0, exec_lo
	v_cmpx_gt_i32_e32 2, v0
	s_cbranch_execz .LBB4_4
; %bb.3:
	s_get_pc_i64 s[0:1]
	s_add_nc_u64 s[0:1], s[0:1], zeros_size_b@rel64+4
	v_mov_b32_e32 v2, 0
	v_lshl_add_u64 v[0:1], v[0:1], 2, s[0:1]
	global_store_b32 v[0:1], v2, off
.LBB4_4:
	s_endpgm
	.section	.rodata,"a",@progbits
	.p2align	6, 0x0
	.amdhsa_kernel _Z14step_1_col_subv
		.amdhsa_group_segment_fixed_size 0
		.amdhsa_private_segment_fixed_size 0
		.amdhsa_kernarg_size 256
		.amdhsa_user_sgpr_count 6
		.amdhsa_user_sgpr_dispatch_ptr 0
		.amdhsa_user_sgpr_queue_ptr 0
		.amdhsa_user_sgpr_kernarg_segment_ptr 1
		.amdhsa_user_sgpr_dispatch_id 0
		.amdhsa_user_sgpr_kernarg_preload_length 4
		.amdhsa_user_sgpr_kernarg_preload_offset 0
		.amdhsa_user_sgpr_private_segment_size 0
		.amdhsa_wavefront_size32 1
		.amdhsa_uses_dynamic_stack 0
		.amdhsa_enable_private_segment 0
		.amdhsa_system_sgpr_workgroup_id_x 1
		.amdhsa_system_sgpr_workgroup_id_y 0
		.amdhsa_system_sgpr_workgroup_id_z 0
		.amdhsa_system_sgpr_workgroup_info 0
		.amdhsa_system_vgpr_workitem_id 0
		.amdhsa_next_free_vgpr 4
		.amdhsa_next_free_sgpr 6
		.amdhsa_named_barrier_count 0
		.amdhsa_reserve_vcc 0
		.amdhsa_float_round_mode_32 0
		.amdhsa_float_round_mode_16_64 0
		.amdhsa_float_denorm_mode_32 3
		.amdhsa_float_denorm_mode_16_64 3
		.amdhsa_fp16_overflow 0
		.amdhsa_memory_ordered 1
		.amdhsa_forward_progress 1
		.amdhsa_inst_pref_size 3
		.amdhsa_round_robin_scheduling 0
		.amdhsa_exception_fp_ieee_invalid_op 0
		.amdhsa_exception_fp_denorm_src 0
		.amdhsa_exception_fp_ieee_div_zero 0
		.amdhsa_exception_fp_ieee_overflow 0
		.amdhsa_exception_fp_ieee_underflow 0
		.amdhsa_exception_fp_ieee_inexact 0
		.amdhsa_exception_int_div_zero 0
	.end_amdhsa_kernel
	.text
.Lfunc_end4:
	.size	_Z14step_1_col_subv, .Lfunc_end4-_Z14step_1_col_subv
                                        ; -- End function
	.set _Z14step_1_col_subv.num_vgpr, 4
	.set _Z14step_1_col_subv.num_agpr, 0
	.set _Z14step_1_col_subv.numbered_sgpr, 6
	.set _Z14step_1_col_subv.num_named_barrier, 0
	.set _Z14step_1_col_subv.private_seg_size, 0
	.set _Z14step_1_col_subv.uses_vcc, 0
	.set _Z14step_1_col_subv.uses_flat_scratch, 0
	.set _Z14step_1_col_subv.has_dyn_sized_stack, 0
	.set _Z14step_1_col_subv.has_recursion, 0
	.set _Z14step_1_col_subv.has_indirect_call, 0
	.section	.AMDGPU.csdata,"",@progbits
; Kernel info:
; codeLenInByte = 272
; TotalNumSgprs: 6
; NumVgprs: 4
; ScratchSize: 0
; MemoryBound: 0
; FloatMode: 240
; IeeeMode: 1
; LDSByteSize: 0 bytes/workgroup (compile time only)
; SGPRBlocks: 0
; VGPRBlocks: 0
; NumSGPRsForWavesPerEU: 6
; NumVGPRsForWavesPerEU: 4
; NamedBarCnt: 0
; Occupancy: 16
; WaveLimiterHint : 1
; COMPUTE_PGM_RSRC2:SCRATCH_EN: 0
; COMPUTE_PGM_RSRC2:USER_SGPR: 6
; COMPUTE_PGM_RSRC2:TRAP_HANDLER: 0
; COMPUTE_PGM_RSRC2:TGID_X_EN: 1
; COMPUTE_PGM_RSRC2:TGID_Y_EN: 0
; COMPUTE_PGM_RSRC2:TGID_Z_EN: 0
; COMPUTE_PGM_RSRC2:TIDIG_COMP_CNT: 0
	.text
	.protected	_Z15compress_matrixv    ; -- Begin function _Z15compress_matrixv
	.globl	_Z15compress_matrixv
	.p2align	8
	.type	_Z15compress_matrixv,@function
_Z15compress_matrixv:                   ; @_Z15compress_matrixv
; %bb.0:
	s_bfe_u32 s0, ttmp6, 0x4000c
	s_and_b32 s2, ttmp6, 15
	s_add_co_i32 s0, s0, 1
	s_getreg_b32 s3, hwreg(HW_REG_IB_STS2, 6, 4)
	s_mul_i32 s0, ttmp9, s0
	s_and_b32 s1, s5, 0xffff
	s_add_co_i32 s2, s2, s0
	s_cmp_eq_u32 s3, 0
	s_cselect_b32 s0, ttmp9, s2
	s_delay_alu instid0(SALU_CYCLE_1)
	v_mad_u32 v0, s0, s1, v0
	s_get_pc_i64 s[0:1]
	s_add_nc_u64 s[0:1], s[0:1], slack@rel64+4
	global_load_b32 v1, v0, s[0:1] scale_offset
	s_wait_xcnt 0x0
	s_mov_b32 s0, exec_lo
	s_wait_loadcnt 0x0
	v_cmpx_eq_u32_e32 0, v1
	s_cbranch_execz .LBB5_4
; %bb.1:
	s_mov_b32 s1, exec_lo
	s_mov_b32 s0, exec_lo
	v_mbcnt_lo_u32_b32 v1, s1, 0
	s_delay_alu instid0(VALU_DEP_1)
	v_cmpx_eq_u32_e32 0, v1
	s_cbranch_execz .LBB5_3
; %bb.2:
	s_get_pc_i64 s[2:3]
	s_add_nc_u64 s[2:3], s[2:3], zeros_size@rel64+4
	s_bcnt1_i32_b32 s1, s1
	s_load_b64 s[2:3], s[2:3], 0x0
	v_dual_mov_b32 v1, 0 :: v_dual_mov_b32 v2, s1
	s_wait_xcnt 0x0
	s_wait_kmcnt 0x0
	global_atomic_add_u32 v1, v2, s[2:3] scope:SCOPE_DEV
.LBB5_3:
	s_wait_xcnt 0x0
	s_or_b32 exec_lo, exec_lo, s0
	v_dual_mov_b32 v2, 1 :: v_dual_ashrrev_i32 v1, 19, v0
	s_get_pc_i64 s[0:1]
	s_add_nc_u64 s[0:1], s[0:1], zeros_size_b@rel64+4
	global_atomic_add_u32 v1, v1, v2, s[0:1] scale_offset th:TH_ATOMIC_RETURN scope:SCOPE_DEV
	s_wait_xcnt 0x0
	v_and_b32_e32 v2, 0xfff80000, v0
	s_get_pc_i64 s[0:1]
	s_add_nc_u64 s[0:1], s[0:1], zeros@rel64+4
	s_wait_loadcnt 0x0
	s_delay_alu instid0(VALU_DEP_1)
	v_add_nc_u32_e32 v1, v1, v2
	global_store_b32 v1, v0, s[0:1] scale_offset
.LBB5_4:
	s_endpgm
	.section	.rodata,"a",@progbits
	.p2align	6, 0x0
	.amdhsa_kernel _Z15compress_matrixv
		.amdhsa_group_segment_fixed_size 0
		.amdhsa_private_segment_fixed_size 0
		.amdhsa_kernarg_size 256
		.amdhsa_user_sgpr_count 6
		.amdhsa_user_sgpr_dispatch_ptr 0
		.amdhsa_user_sgpr_queue_ptr 0
		.amdhsa_user_sgpr_kernarg_segment_ptr 1
		.amdhsa_user_sgpr_dispatch_id 0
		.amdhsa_user_sgpr_kernarg_preload_length 4
		.amdhsa_user_sgpr_kernarg_preload_offset 0
		.amdhsa_user_sgpr_private_segment_size 0
		.amdhsa_wavefront_size32 1
		.amdhsa_uses_dynamic_stack 0
		.amdhsa_enable_private_segment 0
		.amdhsa_system_sgpr_workgroup_id_x 1
		.amdhsa_system_sgpr_workgroup_id_y 0
		.amdhsa_system_sgpr_workgroup_id_z 0
		.amdhsa_system_sgpr_workgroup_info 0
		.amdhsa_system_vgpr_workitem_id 0
		.amdhsa_next_free_vgpr 3
		.amdhsa_next_free_sgpr 6
		.amdhsa_named_barrier_count 0
		.amdhsa_reserve_vcc 0
		.amdhsa_float_round_mode_32 0
		.amdhsa_float_round_mode_16_64 0
		.amdhsa_float_denorm_mode_32 3
		.amdhsa_float_denorm_mode_16_64 3
		.amdhsa_fp16_overflow 0
		.amdhsa_memory_ordered 1
		.amdhsa_forward_progress 1
		.amdhsa_inst_pref_size 3
		.amdhsa_round_robin_scheduling 0
		.amdhsa_exception_fp_ieee_invalid_op 0
		.amdhsa_exception_fp_denorm_src 0
		.amdhsa_exception_fp_ieee_div_zero 0
		.amdhsa_exception_fp_ieee_overflow 0
		.amdhsa_exception_fp_ieee_underflow 0
		.amdhsa_exception_fp_ieee_inexact 0
		.amdhsa_exception_int_div_zero 0
	.end_amdhsa_kernel
	.text
.Lfunc_end5:
	.size	_Z15compress_matrixv, .Lfunc_end5-_Z15compress_matrixv
                                        ; -- End function
	.set _Z15compress_matrixv.num_vgpr, 3
	.set _Z15compress_matrixv.num_agpr, 0
	.set _Z15compress_matrixv.numbered_sgpr, 6
	.set _Z15compress_matrixv.num_named_barrier, 0
	.set _Z15compress_matrixv.private_seg_size, 0
	.set _Z15compress_matrixv.uses_vcc, 0
	.set _Z15compress_matrixv.uses_flat_scratch, 0
	.set _Z15compress_matrixv.has_dyn_sized_stack, 0
	.set _Z15compress_matrixv.has_recursion, 0
	.set _Z15compress_matrixv.has_indirect_call, 0
	.section	.AMDGPU.csdata,"",@progbits
; Kernel info:
; codeLenInByte = 288
; TotalNumSgprs: 6
; NumVgprs: 3
; ScratchSize: 0
; MemoryBound: 0
; FloatMode: 240
; IeeeMode: 1
; LDSByteSize: 0 bytes/workgroup (compile time only)
; SGPRBlocks: 0
; VGPRBlocks: 0
; NumSGPRsForWavesPerEU: 6
; NumVGPRsForWavesPerEU: 3
; NamedBarCnt: 0
; Occupancy: 16
; WaveLimiterHint : 1
; COMPUTE_PGM_RSRC2:SCRATCH_EN: 0
; COMPUTE_PGM_RSRC2:USER_SGPR: 6
; COMPUTE_PGM_RSRC2:TRAP_HANDLER: 0
; COMPUTE_PGM_RSRC2:TGID_X_EN: 1
; COMPUTE_PGM_RSRC2:TGID_Y_EN: 0
; COMPUTE_PGM_RSRC2:TGID_Z_EN: 0
; COMPUTE_PGM_RSRC2:TIDIG_COMP_CNT: 0
	.text
	.protected	_Z6step_2v              ; -- Begin function _Z6step_2v
	.globl	_Z6step_2v
	.p2align	8
	.type	_Z6step_2v,@function
_Z6step_2v:                             ; @_Z6step_2v
; %bb.0:
	v_cmp_eq_u32_e64 s0, 0, v0
	s_and_saveexec_b32 s1, s0
; %bb.1:
	v_mov_b32_e32 v1, 0
	ds_store_b8 v1, v1
; %bb.2:
	s_or_b32 exec_lo, exec_lo, s1
	s_bfe_u32 s1, ttmp6, 0x4000c
	s_and_b32 s2, ttmp6, 15
	s_add_co_i32 s1, s1, 1
	s_getreg_b32 s3, hwreg(HW_REG_IB_STS2, 6, 4)
	s_mul_i32 s1, ttmp9, s1
	v_dual_mov_b32 v3, 0 :: v_dual_mov_b32 v1, 1
	s_add_co_i32 s2, s2, s1
	s_cmp_eq_u32 s3, 0
	v_mov_b32_e32 v8, 0x101
	s_cselect_b32 s16, ttmp9, s2
	s_get_pc_i64 s[14:15]
	s_add_nc_u64 s[14:15], s[14:15], zeros_size_b@rel64+4
	s_ashr_i32 s17, s16, 31
	s_lshl_b32 s1, s16, 19
	s_lshl_b64 s[18:19], s[16:17], 2
	s_and_b32 s4, 0xffff, s5
	s_add_nc_u64 s[14:15], s[14:15], s[18:19]
	s_get_pc_i64 s[2:3]
	s_add_nc_u64 s[2:3], s[2:3], zeros@rel64+4
	s_get_pc_i64 s[6:7]
	s_add_nc_u64 s[6:7], s[6:7], cover_row@rel64+4
	s_get_pc_i64 s[8:9]
	s_add_nc_u64 s[8:9], s[8:9], cover_column@rel64+4
	s_get_pc_i64 s[10:11]
	s_add_nc_u64 s[10:11], s[10:11], row_of_star_at_column@rel64+4
	s_get_pc_i64 s[12:13]
	s_add_nc_u64 s[12:13], s[12:13], column_of_star_at_row@rel64+4
	s_branch .LBB6_4
.LBB6_3:                                ;   in Loop: Header=BB6_4 Depth=1
	s_or_b32 exec_lo, exec_lo, s5
	s_wait_storecnt_dscnt 0x0
	s_barrier_signal -1
	s_barrier_wait -1
	ds_load_u8 v2, v3 offset:1
	s_wait_dscnt 0x0
	v_cmp_eq_u32_e32 vcc_lo, 0, v2
	s_cbranch_vccnz .LBB6_16
.LBB6_4:                                ; =>This Loop Header: Depth=1
                                        ;     Child Loop BB6_9 Depth 2
	s_wait_dscnt 0x0
	s_barrier_signal -1
	s_barrier_wait -1
	s_and_saveexec_b32 s5, s0
; %bb.5:                                ;   in Loop: Header=BB6_4 Depth=1
	ds_store_b8 v3, v3 offset:1
; %bb.6:                                ;   in Loop: Header=BB6_4 Depth=1
	s_or_b32 exec_lo, exec_lo, s5
	s_wait_dscnt 0x0
	s_barrier_signal -1
	s_barrier_wait -1
	global_load_b32 v9, v3, s[14:15]
	s_mov_b32 s5, exec_lo
	s_wait_loadcnt 0x0
	v_cmpx_lt_i32_e64 v0, v9
	s_cbranch_execz .LBB6_3
; %bb.7:                                ;   in Loop: Header=BB6_4 Depth=1
	v_mov_b32_e32 v10, v0
	s_mov_b32 s16, 0
	s_branch .LBB6_9
.LBB6_8:                                ;   in Loop: Header=BB6_9 Depth=2
	s_wait_xcnt 0x0
	s_or_b32 exec_lo, exec_lo, s17
	v_add_nc_u32_e32 v10, s4, v10
	s_delay_alu instid0(VALU_DEP_1) | instskip(SKIP_1) | instid1(SALU_CYCLE_1)
	v_cmp_ge_i32_e32 vcc_lo, v10, v9
	s_or_b32 s16, vcc_lo, s16
	s_and_not1_b32 exec_lo, exec_lo, s16
	s_cbranch_execz .LBB6_3
.LBB6_9:                                ;   Parent Loop BB6_4 Depth=1
                                        ; =>  This Inner Loop Header: Depth=2
	s_delay_alu instid0(VALU_DEP_1)
	v_add_nc_u32_e32 v2, s1, v10
	s_mov_b32 s17, exec_lo
	global_load_b32 v2, v2, s[2:3] scale_offset
	s_wait_loadcnt 0x0
	v_and_b32_e32 v11, 0x3ff, v2
	global_load_b32 v4, v11, s[6:7] scale_offset
	s_wait_loadcnt 0x0
	s_wait_xcnt 0x0
	v_cmpx_eq_u32_e32 0, v4
	s_cbranch_execz .LBB6_8
; %bb.10:                               ;   in Loop: Header=BB6_9 Depth=2
	v_ashrrev_i32_e32 v4, 10, v2
	global_load_b32 v2, v4, s[8:9] scale_offset
	s_wait_loadcnt 0x0
	v_cmp_eq_u32_e32 vcc_lo, 0, v2
	s_wait_xcnt 0x0
	s_and_b32 exec_lo, exec_lo, vcc_lo
	s_cbranch_execz .LBB6_8
; %bb.11:                               ;   in Loop: Header=BB6_9 Depth=2
	v_lshlrev_b32_e32 v2, 2, v11
	s_delay_alu instid0(VALU_DEP_1)
	v_add_nc_u64_e32 v[6:7], s[6:7], v[2:3]
	global_atomic_swap_b32 v2, v[6:7], v1, off th:TH_ATOMIC_RETURN scope:SCOPE_DEV
	s_wait_loadcnt 0x0
	v_cmp_eq_u32_e32 vcc_lo, 0, v2
	s_wait_xcnt 0x0
	s_and_b32 exec_lo, exec_lo, vcc_lo
	s_cbranch_execz .LBB6_8
; %bb.12:                               ;   in Loop: Header=BB6_9 Depth=2
	v_ashrrev_i32_e32 v5, 31, v4
	s_mov_b32 s18, exec_lo
	s_delay_alu instid0(VALU_DEP_1)
	v_lshl_add_u64 v[12:13], v[4:5], 2, s[8:9]
	global_atomic_swap_b32 v2, v[12:13], v1, off th:TH_ATOMIC_RETURN scope:SCOPE_DEV
	s_wait_loadcnt 0x0
	s_wait_xcnt 0x0
	v_cmpx_ne_u32_e32 0, v2
	s_xor_b32 s18, exec_lo, s18
	s_cbranch_execz .LBB6_14
; %bb.13:                               ;   in Loop: Header=BB6_9 Depth=2
	global_store_b32 v[6:7], v3, off
	ds_store_b16 v3, v8
                                        ; implicit-def: $vgpr4_vgpr5
                                        ; implicit-def: $vgpr11
.LBB6_14:                               ;   in Loop: Header=BB6_9 Depth=2
	s_wait_xcnt 0x0
	s_and_not1_saveexec_b32 s18, s18
	s_cbranch_execz .LBB6_8
; %bb.15:                               ;   in Loop: Header=BB6_9 Depth=2
	v_lshl_add_u64 v[6:7], v[4:5], 2, s[10:11]
	global_store_b32 v[6:7], v11, off
	global_store_b32 v11, v4, s[12:13] scale_offset
	s_branch .LBB6_8
.LBB6_16:
	v_mov_b32_e32 v0, 0
	ds_load_u8 v1, v0
	s_wait_dscnt 0x0
	v_and_b32_e32 v1, 1, v1
	s_delay_alu instid0(VALU_DEP_1)
	v_cmp_eq_u32_e32 vcc_lo, 0, v1
	s_cbranch_vccnz .LBB6_18
; %bb.17:
	s_get_pc_i64 s[0:1]
	s_add_nc_u64 s[0:1], s[0:1], repeat_kernel@rel64+4
	v_mov_b32_e32 v2, 1
	global_load_b64 v[0:1], v0, s[0:1]
	s_wait_loadcnt 0x0
	global_store_b8 v[0:1], v2, off
.LBB6_18:
	s_endpgm
	.section	.rodata,"a",@progbits
	.p2align	6, 0x0
	.amdhsa_kernel _Z6step_2v
		.amdhsa_group_segment_fixed_size 2
		.amdhsa_private_segment_fixed_size 0
		.amdhsa_kernarg_size 256
		.amdhsa_user_sgpr_count 6
		.amdhsa_user_sgpr_dispatch_ptr 0
		.amdhsa_user_sgpr_queue_ptr 0
		.amdhsa_user_sgpr_kernarg_segment_ptr 1
		.amdhsa_user_sgpr_dispatch_id 0
		.amdhsa_user_sgpr_kernarg_preload_length 4
		.amdhsa_user_sgpr_kernarg_preload_offset 0
		.amdhsa_user_sgpr_private_segment_size 0
		.amdhsa_wavefront_size32 1
		.amdhsa_uses_dynamic_stack 0
		.amdhsa_enable_private_segment 0
		.amdhsa_system_sgpr_workgroup_id_x 1
		.amdhsa_system_sgpr_workgroup_id_y 0
		.amdhsa_system_sgpr_workgroup_id_z 0
		.amdhsa_system_sgpr_workgroup_info 0
		.amdhsa_system_vgpr_workitem_id 0
		.amdhsa_next_free_vgpr 14
		.amdhsa_next_free_sgpr 20
		.amdhsa_named_barrier_count 0
		.amdhsa_reserve_vcc 1
		.amdhsa_float_round_mode_32 0
		.amdhsa_float_round_mode_16_64 0
		.amdhsa_float_denorm_mode_32 3
		.amdhsa_float_denorm_mode_16_64 3
		.amdhsa_fp16_overflow 0
		.amdhsa_memory_ordered 1
		.amdhsa_forward_progress 1
		.amdhsa_inst_pref_size 6
		.amdhsa_round_robin_scheduling 0
		.amdhsa_exception_fp_ieee_invalid_op 0
		.amdhsa_exception_fp_denorm_src 0
		.amdhsa_exception_fp_ieee_div_zero 0
		.amdhsa_exception_fp_ieee_overflow 0
		.amdhsa_exception_fp_ieee_underflow 0
		.amdhsa_exception_fp_ieee_inexact 0
		.amdhsa_exception_int_div_zero 0
	.end_amdhsa_kernel
	.text
.Lfunc_end6:
	.size	_Z6step_2v, .Lfunc_end6-_Z6step_2v
                                        ; -- End function
	.set _Z6step_2v.num_vgpr, 14
	.set _Z6step_2v.num_agpr, 0
	.set _Z6step_2v.numbered_sgpr, 20
	.set _Z6step_2v.num_named_barrier, 0
	.set _Z6step_2v.private_seg_size, 0
	.set _Z6step_2v.uses_vcc, 1
	.set _Z6step_2v.uses_flat_scratch, 0
	.set _Z6step_2v.has_dyn_sized_stack, 0
	.set _Z6step_2v.has_recursion, 0
	.set _Z6step_2v.has_indirect_call, 0
	.section	.AMDGPU.csdata,"",@progbits
; Kernel info:
; codeLenInByte = 708
; TotalNumSgprs: 22
; NumVgprs: 14
; ScratchSize: 0
; MemoryBound: 0
; FloatMode: 240
; IeeeMode: 1
; LDSByteSize: 2 bytes/workgroup (compile time only)
; SGPRBlocks: 0
; VGPRBlocks: 0
; NumSGPRsForWavesPerEU: 22
; NumVGPRsForWavesPerEU: 14
; NamedBarCnt: 0
; Occupancy: 16
; WaveLimiterHint : 1
; COMPUTE_PGM_RSRC2:SCRATCH_EN: 0
; COMPUTE_PGM_RSRC2:USER_SGPR: 6
; COMPUTE_PGM_RSRC2:TRAP_HANDLER: 0
; COMPUTE_PGM_RSRC2:TGID_X_EN: 1
; COMPUTE_PGM_RSRC2:TGID_Y_EN: 0
; COMPUTE_PGM_RSRC2:TGID_Z_EN: 0
; COMPUTE_PGM_RSRC2:TIDIG_COMP_CNT: 0
	.text
	.protected	_Z9step_3iniv           ; -- Begin function _Z9step_3iniv
	.globl	_Z9step_3iniv
	.p2align	8
	.type	_Z9step_3iniv,@function
_Z9step_3iniv:                          ; @_Z9step_3iniv
; %bb.0:
	s_bfe_u32 s0, ttmp6, 0x4000c
	s_and_b32 s2, ttmp6, 15
	s_add_co_i32 s0, s0, 1
	s_getreg_b32 s3, hwreg(HW_REG_IB_STS2, 6, 4)
	s_mul_i32 s0, ttmp9, s0
	s_and_b32 s1, s5, 0xffff
	s_add_co_i32 s2, s2, s0
	s_cmp_eq_u32 s3, 0
	s_cselect_b32 s0, ttmp9, s2
	s_get_pc_i64 s[2:3]
	s_add_nc_u64 s[2:3], s[2:3], cover_column@rel64+4
	v_mad_u32 v1, s0, s1, v0
	v_mov_b32_e32 v0, 0
	s_get_pc_i64 s[0:1]
	s_add_nc_u64 s[0:1], s[0:1], cover_row@rel64+4
	s_clause 0x1
	global_store_b32 v1, v0, s[0:1] scale_offset
	global_store_b32 v1, v0, s[2:3] scale_offset
	s_wait_xcnt 0x1
	s_mov_b32 s0, exec_lo
	s_wait_xcnt 0x0
	v_cmpx_eq_u32_e32 0, v1
	s_cbranch_execz .LBB7_2
; %bb.1:
	s_get_pc_i64 s[0:1]
	s_add_nc_u64 s[0:1], s[0:1], n_matches@rel64+4
	s_load_b64 s[0:1], s[0:1], 0x0
	s_wait_kmcnt 0x0
	global_store_b32 v0, v0, s[0:1]
.LBB7_2:
	s_endpgm
	.section	.rodata,"a",@progbits
	.p2align	6, 0x0
	.amdhsa_kernel _Z9step_3iniv
		.amdhsa_group_segment_fixed_size 0
		.amdhsa_private_segment_fixed_size 0
		.amdhsa_kernarg_size 256
		.amdhsa_user_sgpr_count 6
		.amdhsa_user_sgpr_dispatch_ptr 0
		.amdhsa_user_sgpr_queue_ptr 0
		.amdhsa_user_sgpr_kernarg_segment_ptr 1
		.amdhsa_user_sgpr_dispatch_id 0
		.amdhsa_user_sgpr_kernarg_preload_length 4
		.amdhsa_user_sgpr_kernarg_preload_offset 0
		.amdhsa_user_sgpr_private_segment_size 0
		.amdhsa_wavefront_size32 1
		.amdhsa_uses_dynamic_stack 0
		.amdhsa_enable_private_segment 0
		.amdhsa_system_sgpr_workgroup_id_x 1
		.amdhsa_system_sgpr_workgroup_id_y 0
		.amdhsa_system_sgpr_workgroup_id_z 0
		.amdhsa_system_sgpr_workgroup_info 0
		.amdhsa_system_vgpr_workitem_id 0
		.amdhsa_next_free_vgpr 2
		.amdhsa_next_free_sgpr 6
		.amdhsa_named_barrier_count 0
		.amdhsa_reserve_vcc 0
		.amdhsa_float_round_mode_32 0
		.amdhsa_float_round_mode_16_64 0
		.amdhsa_float_denorm_mode_32 3
		.amdhsa_float_denorm_mode_16_64 3
		.amdhsa_fp16_overflow 0
		.amdhsa_memory_ordered 1
		.amdhsa_forward_progress 1
		.amdhsa_inst_pref_size 2
		.amdhsa_round_robin_scheduling 0
		.amdhsa_exception_fp_ieee_invalid_op 0
		.amdhsa_exception_fp_denorm_src 0
		.amdhsa_exception_fp_ieee_div_zero 0
		.amdhsa_exception_fp_ieee_overflow 0
		.amdhsa_exception_fp_ieee_underflow 0
		.amdhsa_exception_fp_ieee_inexact 0
		.amdhsa_exception_int_div_zero 0
	.end_amdhsa_kernel
	.text
.Lfunc_end7:
	.size	_Z9step_3iniv, .Lfunc_end7-_Z9step_3iniv
                                        ; -- End function
	.set _Z9step_3iniv.num_vgpr, 2
	.set _Z9step_3iniv.num_agpr, 0
	.set _Z9step_3iniv.numbered_sgpr, 6
	.set _Z9step_3iniv.num_named_barrier, 0
	.set _Z9step_3iniv.private_seg_size, 0
	.set _Z9step_3iniv.uses_vcc, 0
	.set _Z9step_3iniv.uses_flat_scratch, 0
	.set _Z9step_3iniv.has_dyn_sized_stack, 0
	.set _Z9step_3iniv.has_recursion, 0
	.set _Z9step_3iniv.has_indirect_call, 0
	.section	.AMDGPU.csdata,"",@progbits
; Kernel info:
; codeLenInByte = 180
; TotalNumSgprs: 6
; NumVgprs: 2
; ScratchSize: 0
; MemoryBound: 0
; FloatMode: 240
; IeeeMode: 1
; LDSByteSize: 0 bytes/workgroup (compile time only)
; SGPRBlocks: 0
; VGPRBlocks: 0
; NumSGPRsForWavesPerEU: 6
; NumVGPRsForWavesPerEU: 2
; NamedBarCnt: 0
; Occupancy: 16
; WaveLimiterHint : 1
; COMPUTE_PGM_RSRC2:SCRATCH_EN: 0
; COMPUTE_PGM_RSRC2:USER_SGPR: 6
; COMPUTE_PGM_RSRC2:TRAP_HANDLER: 0
; COMPUTE_PGM_RSRC2:TGID_X_EN: 1
; COMPUTE_PGM_RSRC2:TGID_Y_EN: 0
; COMPUTE_PGM_RSRC2:TGID_Z_EN: 0
; COMPUTE_PGM_RSRC2:TIDIG_COMP_CNT: 0
	.text
	.protected	_Z6step_3v              ; -- Begin function _Z6step_3v
	.globl	_Z6step_3v
	.p2align	8
	.type	_Z6step_3v,@function
_Z6step_3v:                             ; @_Z6step_3v
; %bb.0:
	s_bfe_u32 s0, ttmp6, 0x4000c
	s_and_b32 s2, ttmp6, 15
	s_add_co_i32 s0, s0, 1
	s_getreg_b32 s3, hwreg(HW_REG_IB_STS2, 6, 4)
	s_mul_i32 s0, ttmp9, s0
	s_and_b32 s1, s5, 0xffff
	s_add_co_i32 s2, s2, s0
	s_cmp_eq_u32 s3, 0
	s_cselect_b32 s0, ttmp9, s2
	s_delay_alu instid0(SALU_CYCLE_1)
	v_mad_u32 v0, s0, s1, v0
	s_get_pc_i64 s[0:1]
	s_add_nc_u64 s[0:1], s[0:1], row_of_star_at_column@rel64+4
	global_load_b32 v1, v0, s[0:1] scale_offset
	s_wait_xcnt 0x0
	s_mov_b32 s0, exec_lo
	s_wait_loadcnt 0x0
	v_cmpx_lt_i32_e32 -1, v1
	s_cbranch_execz .LBB8_3
; %bb.1:
	s_mov_b32 s0, exec_lo
	v_dual_ashrrev_i32 v1, 31, v0 :: v_dual_mov_b32 v3, 1
	v_mbcnt_lo_u32_b32 v2, s0, 0
	s_get_pc_i64 s[2:3]
	s_add_nc_u64 s[2:3], s[2:3], cover_column@rel64+4
	s_delay_alu instid0(VALU_DEP_2) | instid1(SALU_CYCLE_1)
	v_lshl_add_u64 v[0:1], v[0:1], 2, s[2:3]
	s_delay_alu instid0(VALU_DEP_2)
	v_cmp_eq_u32_e32 vcc_lo, 0, v2
	global_store_b32 v[0:1], v3, off
	s_and_b32 s1, exec_lo, vcc_lo
	s_wait_xcnt 0x0
	s_mov_b32 exec_lo, s1
	s_cbranch_execz .LBB8_3
; %bb.2:
	s_get_pc_i64 s[2:3]
	s_add_nc_u64 s[2:3], s[2:3], n_matches@rel64+4
	s_bcnt1_i32_b32 s0, s0
	s_load_b64 s[2:3], s[2:3], 0x0
	v_dual_mov_b32 v0, 0 :: v_dual_mov_b32 v1, s0
	s_wait_xcnt 0x0
	s_wait_kmcnt 0x0
	global_atomic_add_u32 v0, v1, s[2:3] scope:SCOPE_DEV
.LBB8_3:
	s_endpgm
	.section	.rodata,"a",@progbits
	.p2align	6, 0x0
	.amdhsa_kernel _Z6step_3v
		.amdhsa_group_segment_fixed_size 0
		.amdhsa_private_segment_fixed_size 0
		.amdhsa_kernarg_size 256
		.amdhsa_user_sgpr_count 6
		.amdhsa_user_sgpr_dispatch_ptr 0
		.amdhsa_user_sgpr_queue_ptr 0
		.amdhsa_user_sgpr_kernarg_segment_ptr 1
		.amdhsa_user_sgpr_dispatch_id 0
		.amdhsa_user_sgpr_kernarg_preload_length 4
		.amdhsa_user_sgpr_kernarg_preload_offset 0
		.amdhsa_user_sgpr_private_segment_size 0
		.amdhsa_wavefront_size32 1
		.amdhsa_uses_dynamic_stack 0
		.amdhsa_enable_private_segment 0
		.amdhsa_system_sgpr_workgroup_id_x 1
		.amdhsa_system_sgpr_workgroup_id_y 0
		.amdhsa_system_sgpr_workgroup_id_z 0
		.amdhsa_system_sgpr_workgroup_info 0
		.amdhsa_system_vgpr_workitem_id 0
		.amdhsa_next_free_vgpr 4
		.amdhsa_next_free_sgpr 6
		.amdhsa_named_barrier_count 0
		.amdhsa_reserve_vcc 1
		.amdhsa_float_round_mode_32 0
		.amdhsa_float_round_mode_16_64 0
		.amdhsa_float_denorm_mode_32 3
		.amdhsa_float_denorm_mode_16_64 3
		.amdhsa_fp16_overflow 0
		.amdhsa_memory_ordered 1
		.amdhsa_forward_progress 1
		.amdhsa_inst_pref_size 2
		.amdhsa_round_robin_scheduling 0
		.amdhsa_exception_fp_ieee_invalid_op 0
		.amdhsa_exception_fp_denorm_src 0
		.amdhsa_exception_fp_ieee_div_zero 0
		.amdhsa_exception_fp_ieee_overflow 0
		.amdhsa_exception_fp_ieee_underflow 0
		.amdhsa_exception_fp_ieee_inexact 0
		.amdhsa_exception_int_div_zero 0
	.end_amdhsa_kernel
	.text
.Lfunc_end8:
	.size	_Z6step_3v, .Lfunc_end8-_Z6step_3v
                                        ; -- End function
	.set _Z6step_3v.num_vgpr, 4
	.set _Z6step_3v.num_agpr, 0
	.set _Z6step_3v.numbered_sgpr, 6
	.set _Z6step_3v.num_named_barrier, 0
	.set _Z6step_3v.private_seg_size, 0
	.set _Z6step_3v.uses_vcc, 1
	.set _Z6step_3v.uses_flat_scratch, 0
	.set _Z6step_3v.has_dyn_sized_stack, 0
	.set _Z6step_3v.has_recursion, 0
	.set _Z6step_3v.has_indirect_call, 0
	.section	.AMDGPU.csdata,"",@progbits
; Kernel info:
; codeLenInByte = 252
; TotalNumSgprs: 8
; NumVgprs: 4
; ScratchSize: 0
; MemoryBound: 0
; FloatMode: 240
; IeeeMode: 1
; LDSByteSize: 0 bytes/workgroup (compile time only)
; SGPRBlocks: 0
; VGPRBlocks: 0
; NumSGPRsForWavesPerEU: 8
; NumVGPRsForWavesPerEU: 4
; NamedBarCnt: 0
; Occupancy: 16
; WaveLimiterHint : 1
; COMPUTE_PGM_RSRC2:SCRATCH_EN: 0
; COMPUTE_PGM_RSRC2:USER_SGPR: 6
; COMPUTE_PGM_RSRC2:TRAP_HANDLER: 0
; COMPUTE_PGM_RSRC2:TGID_X_EN: 1
; COMPUTE_PGM_RSRC2:TGID_Y_EN: 0
; COMPUTE_PGM_RSRC2:TGID_Z_EN: 0
; COMPUTE_PGM_RSRC2:TIDIG_COMP_CNT: 0
	.text
	.protected	_Z11step_4_initv        ; -- Begin function _Z11step_4_initv
	.globl	_Z11step_4_initv
	.p2align	8
	.type	_Z11step_4_initv,@function
_Z11step_4_initv:                       ; @_Z11step_4_initv
; %bb.0:
	s_bfe_u32 s0, ttmp6, 0x4000c
	s_and_b32 s2, ttmp6, 15
	s_add_co_i32 s0, s0, 1
	s_getreg_b32 s3, hwreg(HW_REG_IB_STS2, 6, 4)
	s_mul_i32 s0, ttmp9, s0
	s_and_b32 s1, s5, 0xffff
	s_add_co_i32 s2, s2, s0
	s_cmp_eq_u32 s3, 0
	v_mov_b32_e32 v1, -1
	s_cselect_b32 s0, ttmp9, s2
	s_get_pc_i64 s[2:3]
	s_add_nc_u64 s[2:3], s[2:3], row_of_green_at_column@rel64+4
	v_mad_u32 v0, s0, s1, v0
	s_get_pc_i64 s[0:1]
	s_add_nc_u64 s[0:1], s[0:1], column_of_prime_at_row@rel64+4
	s_clause 0x1
	global_store_b32 v0, v1, s[0:1] scale_offset
	global_store_b32 v0, v1, s[2:3] scale_offset
	s_endpgm
	.section	.rodata,"a",@progbits
	.p2align	6, 0x0
	.amdhsa_kernel _Z11step_4_initv
		.amdhsa_group_segment_fixed_size 0
		.amdhsa_private_segment_fixed_size 0
		.amdhsa_kernarg_size 256
		.amdhsa_user_sgpr_count 6
		.amdhsa_user_sgpr_dispatch_ptr 0
		.amdhsa_user_sgpr_queue_ptr 0
		.amdhsa_user_sgpr_kernarg_segment_ptr 1
		.amdhsa_user_sgpr_dispatch_id 0
		.amdhsa_user_sgpr_kernarg_preload_length 4
		.amdhsa_user_sgpr_kernarg_preload_offset 0
		.amdhsa_user_sgpr_private_segment_size 0
		.amdhsa_wavefront_size32 1
		.amdhsa_uses_dynamic_stack 0
		.amdhsa_enable_private_segment 0
		.amdhsa_system_sgpr_workgroup_id_x 1
		.amdhsa_system_sgpr_workgroup_id_y 0
		.amdhsa_system_sgpr_workgroup_id_z 0
		.amdhsa_system_sgpr_workgroup_info 0
		.amdhsa_system_vgpr_workitem_id 0
		.amdhsa_next_free_vgpr 2
		.amdhsa_next_free_sgpr 6
		.amdhsa_named_barrier_count 0
		.amdhsa_reserve_vcc 0
		.amdhsa_float_round_mode_32 0
		.amdhsa_float_round_mode_16_64 0
		.amdhsa_float_denorm_mode_32 3
		.amdhsa_float_denorm_mode_16_64 3
		.amdhsa_fp16_overflow 0
		.amdhsa_memory_ordered 1
		.amdhsa_forward_progress 1
		.amdhsa_inst_pref_size 1
		.amdhsa_round_robin_scheduling 0
		.amdhsa_exception_fp_ieee_invalid_op 0
		.amdhsa_exception_fp_denorm_src 0
		.amdhsa_exception_fp_ieee_div_zero 0
		.amdhsa_exception_fp_ieee_overflow 0
		.amdhsa_exception_fp_ieee_underflow 0
		.amdhsa_exception_fp_ieee_inexact 0
		.amdhsa_exception_int_div_zero 0
	.end_amdhsa_kernel
	.text
.Lfunc_end9:
	.size	_Z11step_4_initv, .Lfunc_end9-_Z11step_4_initv
                                        ; -- End function
	.set _Z11step_4_initv.num_vgpr, 2
	.set _Z11step_4_initv.num_agpr, 0
	.set _Z11step_4_initv.numbered_sgpr, 6
	.set _Z11step_4_initv.num_named_barrier, 0
	.set _Z11step_4_initv.private_seg_size, 0
	.set _Z11step_4_initv.uses_vcc, 0
	.set _Z11step_4_initv.uses_flat_scratch, 0
	.set _Z11step_4_initv.has_dyn_sized_stack, 0
	.set _Z11step_4_initv.has_recursion, 0
	.set _Z11step_4_initv.has_indirect_call, 0
	.section	.AMDGPU.csdata,"",@progbits
; Kernel info:
; codeLenInByte = 120
; TotalNumSgprs: 6
; NumVgprs: 2
; ScratchSize: 0
; MemoryBound: 0
; FloatMode: 240
; IeeeMode: 1
; LDSByteSize: 0 bytes/workgroup (compile time only)
; SGPRBlocks: 0
; VGPRBlocks: 0
; NumSGPRsForWavesPerEU: 6
; NumVGPRsForWavesPerEU: 2
; NamedBarCnt: 0
; Occupancy: 16
; WaveLimiterHint : 0
; COMPUTE_PGM_RSRC2:SCRATCH_EN: 0
; COMPUTE_PGM_RSRC2:USER_SGPR: 6
; COMPUTE_PGM_RSRC2:TRAP_HANDLER: 0
; COMPUTE_PGM_RSRC2:TGID_X_EN: 1
; COMPUTE_PGM_RSRC2:TGID_Y_EN: 0
; COMPUTE_PGM_RSRC2:TGID_Z_EN: 0
; COMPUTE_PGM_RSRC2:TIDIG_COMP_CNT: 0
	.text
	.protected	_Z6step_4v              ; -- Begin function _Z6step_4v
	.globl	_Z6step_4v
	.p2align	8
	.type	_Z6step_4v,@function
_Z6step_4v:                             ; @_Z6step_4v
; %bb.0:
	v_cmp_eq_u32_e64 s0, 0, v0
	s_and_saveexec_b32 s1, s0
	s_cbranch_execz .LBB10_2
; %bb.1:
	v_mov_b32_e32 v1, 0
	ds_store_b8 v1, v1
	ds_store_b8 v1, v1 offset:2
.LBB10_2:
	s_or_b32 exec_lo, exec_lo, s1
	s_bfe_u32 s1, ttmp6, 0x4000c
	s_and_b32 s2, ttmp6, 15
	s_add_co_i32 s1, s1, 1
	s_getreg_b32 s3, hwreg(HW_REG_IB_STS2, 6, 4)
	s_mul_i32 s1, ttmp9, s1
	v_dual_mov_b32 v3, 0 :: v_dual_mov_b32 v14, 1
	s_add_co_i32 s2, s2, s1
	s_cmp_eq_u32 s3, 0
	v_mov_b32_e32 v1, 0x101
	s_cselect_b32 s16, ttmp9, s2
	s_get_pc_i64 s[14:15]
	s_add_nc_u64 s[14:15], s[14:15], zeros_size_b@rel64+4
	s_ashr_i32 s17, s16, 31
	s_lshl_b32 s4, s16, 19
	s_lshl_b64 s[18:19], s[16:17], 2
	s_and_b32 s5, 0xffff, s5
	s_add_nc_u64 s[14:15], s[14:15], s[18:19]
	s_get_pc_i64 s[2:3]
	s_add_nc_u64 s[2:3], s[2:3], zeros@rel64+4
	s_get_pc_i64 s[6:7]
	s_add_nc_u64 s[6:7], s[6:7], column_of_star_at_row@rel64+4
	s_get_pc_i64 s[8:9]
	s_add_nc_u64 s[8:9], s[8:9], cover_column@rel64+4
	s_get_pc_i64 s[10:11]
	s_add_nc_u64 s[10:11], s[10:11], cover_row@rel64+4
	s_get_pc_i64 s[12:13]
	s_add_nc_u64 s[12:13], s[12:13], column_of_prime_at_row@rel64+4
	s_branch .LBB10_4
.LBB10_3:                               ;   in Loop: Header=BB10_4 Depth=1
	s_or_b32 exec_lo, exec_lo, s16
	s_wait_storecnt_dscnt 0x0
	s_barrier_signal -1
	s_barrier_wait -1
	ds_load_u8 v2, v3 offset:1
	ds_load_u8 v4, v3 offset:2
	s_wait_dscnt 0x1
	v_readfirstlane_b32 s1, v2
	s_wait_dscnt 0x0
	v_readfirstlane_b32 s16, v4
	s_bitcmp1_b32 s1, 0
	s_cselect_b32 s17, -1, 0
	s_bitcmp1_b32 s16, 0
	s_cselect_b32 s1, -1, 0
	s_xor_b32 s16, s17, -1
	s_delay_alu instid0(SALU_CYCLE_1) | instskip(NEXT) | instid1(SALU_CYCLE_1)
	s_or_b32 s16, s16, s1
	s_and_b32 vcc_lo, exec_lo, s16
	s_cbranch_vccnz .LBB10_69
.LBB10_4:                               ; =>This Loop Header: Depth=1
                                        ;     Child Loop BB10_9 Depth 2
	s_wait_dscnt 0x0
	s_barrier_signal -1
	s_barrier_wait -1
	s_and_saveexec_b32 s1, s0
; %bb.5:                                ;   in Loop: Header=BB10_4 Depth=1
	ds_store_b8 v3, v3 offset:1
; %bb.6:                                ;   in Loop: Header=BB10_4 Depth=1
	s_or_b32 exec_lo, exec_lo, s1
	s_wait_dscnt 0x0
	s_barrier_signal -1
	s_barrier_wait -1
	global_load_b32 v2, v3, s[14:15]
	s_mov_b32 s16, exec_lo
	s_wait_loadcnt 0x0
	v_cmpx_lt_i32_e64 v0, v2
	s_cbranch_execz .LBB10_3
; %bb.7:                                ;   in Loop: Header=BB10_4 Depth=1
	v_mov_b32_e32 v15, v0
	s_mov_b32 s17, 0
	s_branch .LBB10_9
.LBB10_8:                               ;   in Loop: Header=BB10_9 Depth=2
	s_wait_xcnt 0x0
	s_or_b32 exec_lo, exec_lo, s18
	global_load_b32 v2, v3, s[14:15]
	v_add_nc_u32_e32 v15, s5, v15
	s_wait_loadcnt 0x0
	s_delay_alu instid0(VALU_DEP_1)
	v_cmp_ge_i32_e32 vcc_lo, v15, v2
	s_or_b32 s17, vcc_lo, s17
	s_wait_xcnt 0x0
	s_and_not1_b32 exec_lo, exec_lo, s17
	s_cbranch_execz .LBB10_3
.LBB10_9:                               ;   Parent Loop BB10_4 Depth=1
                                        ; =>  This Inner Loop Header: Depth=2
	s_delay_alu instid0(VALU_DEP_1)
	v_add_nc_u32_e32 v2, s4, v15
	s_mov_b32 s18, exec_lo
	global_load_b32 v2, v2, s[2:3] scale_offset
	s_wait_loadcnt 0x0
	v_and_b32_e32 v4, 0x3ff, v2
	s_wait_xcnt 0x0
	s_delay_alu instid0(VALU_DEP_1)
	v_dual_ashrrev_i32 v8, 10, v2 :: v_dual_lshlrev_b32 v2, 2, v4
	global_load_b32 v6, v4, s[6:7] scale_offset
	flat_load_b32 v9, v8, s[8:9] scale_offset scope:SCOPE_SYS
	s_wait_loadcnt 0x0
	s_wait_xcnt 0x1
	v_add_nc_u64_e32 v[4:5], s[10:11], v[2:3]
	v_add_nc_u64_e32 v[10:11], s[12:13], v[2:3]
	v_ashrrev_i32_e32 v7, 31, v6
	s_delay_alu instid0(VALU_DEP_1)
	v_cmp_gt_i64_e32 vcc_lo, 0, v[6:7]
	v_lshl_add_u64 v[6:7], v[6:7], 2, s[8:9]
	s_wait_dscnt 0x0
	s_wait_xcnt 0x0
	v_cmpx_eq_u32_e32 0, v9
	s_cbranch_execz .LBB10_15
; %bb.10:                               ;   in Loop: Header=BB10_9 Depth=2
	flat_load_b32 v2, v[4:5] scope:SCOPE_SYS
	s_wait_loadcnt_dscnt 0x0
	v_cmp_eq_u32_e64 s1, 0, v2
	s_wait_xcnt 0x0
	s_and_b32 exec_lo, exec_lo, s1
	s_cbranch_execz .LBB10_15
; %bb.11:                               ;   in Loop: Header=BB10_9 Depth=2
	ds_store_b16 v3, v1
	global_store_b32 v[10:11], v8, off
	s_wait_xcnt 0x0
	s_and_saveexec_b32 s1, vcc_lo
	s_delay_alu instid0(SALU_CYCLE_1)
	s_xor_b32 s1, exec_lo, s1
; %bb.12:                               ;   in Loop: Header=BB10_9 Depth=2
	ds_store_b8 v3, v14 offset:2
; %bb.13:                               ;   in Loop: Header=BB10_9 Depth=2
	s_and_not1_saveexec_b32 s1, s1
	s_cbranch_execz .LBB10_15
; %bb.14:                               ;   in Loop: Header=BB10_9 Depth=2
	flat_store_b32 v[4:5], v14 scope:SCOPE_SYS
	s_wait_storecnt 0x0
	global_wb scope:SCOPE_DEV
	s_wait_storecnt_dscnt 0x0
	global_inv scope:SCOPE_DEV
	flat_store_b32 v[6:7], v3 scope:SCOPE_SYS
	s_wait_storecnt 0x0
.LBB10_15:                              ;   in Loop: Header=BB10_9 Depth=2
	s_wait_xcnt 0x0
	s_or_b32 exec_lo, exec_lo, s18
	v_ashrrev_i32_e32 v9, 31, v8
	s_mov_b32 s18, exec_lo
	s_delay_alu instid0(VALU_DEP_1)
	v_lshl_add_u64 v[12:13], v[8:9], 2, s[8:9]
	flat_load_b32 v2, v[12:13] scope:SCOPE_SYS
	s_wait_loadcnt_dscnt 0x0
	v_cmpx_eq_u32_e32 0, v2
	s_cbranch_execz .LBB10_21
; %bb.16:                               ;   in Loop: Header=BB10_9 Depth=2
	flat_load_b32 v2, v[4:5] scope:SCOPE_SYS
	s_wait_loadcnt_dscnt 0x0
	v_cmp_eq_u32_e64 s1, 0, v2
	s_wait_xcnt 0x0
	s_and_b32 exec_lo, exec_lo, s1
	s_cbranch_execz .LBB10_21
; %bb.17:                               ;   in Loop: Header=BB10_9 Depth=2
	ds_store_b16 v3, v1
	global_store_b32 v[10:11], v8, off
	s_wait_xcnt 0x0
	s_and_saveexec_b32 s1, vcc_lo
	s_delay_alu instid0(SALU_CYCLE_1)
	s_xor_b32 s1, exec_lo, s1
; %bb.18:                               ;   in Loop: Header=BB10_9 Depth=2
	ds_store_b8 v3, v14 offset:2
; %bb.19:                               ;   in Loop: Header=BB10_9 Depth=2
	s_and_not1_saveexec_b32 s1, s1
	s_cbranch_execz .LBB10_21
; %bb.20:                               ;   in Loop: Header=BB10_9 Depth=2
	flat_store_b32 v[4:5], v14 scope:SCOPE_SYS
	s_wait_storecnt 0x0
	global_wb scope:SCOPE_DEV
	s_wait_storecnt_dscnt 0x0
	global_inv scope:SCOPE_DEV
	flat_store_b32 v[6:7], v3 scope:SCOPE_SYS
	s_wait_storecnt 0x0
.LBB10_21:                              ;   in Loop: Header=BB10_9 Depth=2
	s_wait_xcnt 0x0
	s_or_b32 exec_lo, exec_lo, s18
	flat_load_b32 v2, v[12:13] scope:SCOPE_SYS
	s_wait_loadcnt 0x0
	s_mov_b32 s18, exec_lo
	s_wait_dscnt 0x0
	s_wait_xcnt 0x0
	v_cmpx_eq_u32_e32 0, v2
	s_cbranch_execz .LBB10_27
; %bb.22:                               ;   in Loop: Header=BB10_9 Depth=2
	flat_load_b32 v2, v[4:5] scope:SCOPE_SYS
	s_wait_loadcnt_dscnt 0x0
	v_cmp_eq_u32_e64 s1, 0, v2
	s_wait_xcnt 0x0
	s_and_b32 exec_lo, exec_lo, s1
	s_cbranch_execz .LBB10_27
; %bb.23:                               ;   in Loop: Header=BB10_9 Depth=2
	ds_store_b16 v3, v1
	global_store_b32 v[10:11], v8, off
	s_wait_xcnt 0x0
	s_and_saveexec_b32 s1, vcc_lo
	s_delay_alu instid0(SALU_CYCLE_1)
	s_xor_b32 s1, exec_lo, s1
; %bb.24:                               ;   in Loop: Header=BB10_9 Depth=2
	ds_store_b8 v3, v14 offset:2
; %bb.25:                               ;   in Loop: Header=BB10_9 Depth=2
	s_and_not1_saveexec_b32 s1, s1
	s_cbranch_execz .LBB10_27
; %bb.26:                               ;   in Loop: Header=BB10_9 Depth=2
	flat_store_b32 v[4:5], v14 scope:SCOPE_SYS
	s_wait_storecnt 0x0
	global_wb scope:SCOPE_DEV
	s_wait_storecnt_dscnt 0x0
	global_inv scope:SCOPE_DEV
	flat_store_b32 v[6:7], v3 scope:SCOPE_SYS
	s_wait_storecnt 0x0
.LBB10_27:                              ;   in Loop: Header=BB10_9 Depth=2
	s_wait_xcnt 0x0
	s_or_b32 exec_lo, exec_lo, s18
	flat_load_b32 v2, v[12:13] scope:SCOPE_SYS
	s_wait_loadcnt 0x0
	s_mov_b32 s18, exec_lo
	s_wait_dscnt 0x0
	s_wait_xcnt 0x0
	;; [unrolled: 37-line block ×8, first 2 shown]
	v_cmpx_eq_u32_e32 0, v2
	s_cbranch_execz .LBB10_8
; %bb.64:                               ;   in Loop: Header=BB10_9 Depth=2
	flat_load_b32 v2, v[4:5] scope:SCOPE_SYS
	s_wait_loadcnt_dscnt 0x0
	v_cmp_eq_u32_e64 s1, 0, v2
	s_wait_xcnt 0x0
	s_and_b32 exec_lo, exec_lo, s1
	s_cbranch_execz .LBB10_8
; %bb.65:                               ;   in Loop: Header=BB10_9 Depth=2
	ds_store_b16 v3, v1
	global_store_b32 v[10:11], v8, off
	s_wait_xcnt 0x0
	s_and_saveexec_b32 s1, vcc_lo
	s_delay_alu instid0(SALU_CYCLE_1)
	s_xor_b32 s1, exec_lo, s1
; %bb.66:                               ;   in Loop: Header=BB10_9 Depth=2
	ds_store_b8 v3, v14 offset:2
                                        ; implicit-def: $vgpr4_vgpr5
                                        ; implicit-def: $vgpr6_vgpr7
; %bb.67:                               ;   in Loop: Header=BB10_9 Depth=2
	s_and_not1_saveexec_b32 s1, s1
	s_cbranch_execz .LBB10_8
; %bb.68:                               ;   in Loop: Header=BB10_9 Depth=2
	flat_store_b32 v[4:5], v14 scope:SCOPE_SYS
	s_wait_storecnt 0x0
	global_wb scope:SCOPE_DEV
	s_wait_storecnt_dscnt 0x0
	global_inv scope:SCOPE_DEV
	flat_store_b32 v[6:7], v3 scope:SCOPE_SYS
	s_wait_storecnt 0x0
	s_branch .LBB10_8
.LBB10_69:
	v_mov_b32_e32 v0, 0
	ds_load_u8 v1, v0
	s_wait_dscnt 0x0
	v_readfirstlane_b32 s2, v1
	s_bitcmp1_b32 s2, 0
	s_cselect_b32 s2, -1, 0
	s_delay_alu instid0(SALU_CYCLE_1) | instskip(NEXT) | instid1(SALU_CYCLE_1)
	s_and_b32 s3, s0, s2
	s_and_saveexec_b32 s2, s3
	s_cbranch_execnz .LBB10_72
; %bb.70:
	s_or_b32 exec_lo, exec_lo, s2
	s_and_b32 s0, s0, s1
	s_delay_alu instid0(SALU_CYCLE_1)
	s_and_saveexec_b32 s1, s0
	s_cbranch_execnz .LBB10_73
.LBB10_71:
	s_endpgm
.LBB10_72:
	s_get_pc_i64 s[4:5]
	s_add_nc_u64 s[4:5], s[4:5], repeat_kernel@rel64+4
	v_mov_b32_e32 v2, 1
	global_load_b64 v[0:1], v0, s[4:5]
	s_wait_loadcnt 0x0
	global_store_b8 v[0:1], v2, off
	s_wait_xcnt 0x0
	s_or_b32 exec_lo, exec_lo, s2
	s_and_b32 s0, s0, s1
	s_delay_alu instid0(SALU_CYCLE_1)
	s_and_saveexec_b32 s1, s0
	s_cbranch_execz .LBB10_71
.LBB10_73:
	v_dual_mov_b32 v0, 0 :: v_dual_mov_b32 v2, 1
	s_get_pc_i64 s[0:1]
	s_add_nc_u64 s[0:1], s[0:1], goto_5@rel64+4
	global_load_b64 v[0:1], v0, s[0:1]
	s_wait_loadcnt 0x0
	global_store_b8 v[0:1], v2, off
	s_endpgm
	.section	.rodata,"a",@progbits
	.p2align	6, 0x0
	.amdhsa_kernel _Z6step_4v
		.amdhsa_group_segment_fixed_size 3
		.amdhsa_private_segment_fixed_size 0
		.amdhsa_kernarg_size 256
		.amdhsa_user_sgpr_count 6
		.amdhsa_user_sgpr_dispatch_ptr 0
		.amdhsa_user_sgpr_queue_ptr 0
		.amdhsa_user_sgpr_kernarg_segment_ptr 1
		.amdhsa_user_sgpr_dispatch_id 0
		.amdhsa_user_sgpr_kernarg_preload_length 4
		.amdhsa_user_sgpr_kernarg_preload_offset 0
		.amdhsa_user_sgpr_private_segment_size 0
		.amdhsa_wavefront_size32 1
		.amdhsa_uses_dynamic_stack 0
		.amdhsa_enable_private_segment 0
		.amdhsa_system_sgpr_workgroup_id_x 1
		.amdhsa_system_sgpr_workgroup_id_y 0
		.amdhsa_system_sgpr_workgroup_id_z 0
		.amdhsa_system_sgpr_workgroup_info 0
		.amdhsa_system_vgpr_workitem_id 0
		.amdhsa_next_free_vgpr 16
		.amdhsa_next_free_sgpr 20
		.amdhsa_named_barrier_count 0
		.amdhsa_reserve_vcc 1
		.amdhsa_float_round_mode_32 0
		.amdhsa_float_round_mode_16_64 0
		.amdhsa_float_denorm_mode_32 3
		.amdhsa_float_denorm_mode_16_64 3
		.amdhsa_fp16_overflow 0
		.amdhsa_memory_ordered 1
		.amdhsa_forward_progress 1
		.amdhsa_inst_pref_size 21
		.amdhsa_round_robin_scheduling 0
		.amdhsa_exception_fp_ieee_invalid_op 0
		.amdhsa_exception_fp_denorm_src 0
		.amdhsa_exception_fp_ieee_div_zero 0
		.amdhsa_exception_fp_ieee_overflow 0
		.amdhsa_exception_fp_ieee_underflow 0
		.amdhsa_exception_fp_ieee_inexact 0
		.amdhsa_exception_int_div_zero 0
	.end_amdhsa_kernel
	.text
.Lfunc_end10:
	.size	_Z6step_4v, .Lfunc_end10-_Z6step_4v
                                        ; -- End function
	.set _Z6step_4v.num_vgpr, 16
	.set _Z6step_4v.num_agpr, 0
	.set _Z6step_4v.numbered_sgpr, 20
	.set _Z6step_4v.num_named_barrier, 0
	.set _Z6step_4v.private_seg_size, 0
	.set _Z6step_4v.uses_vcc, 1
	.set _Z6step_4v.uses_flat_scratch, 0
	.set _Z6step_4v.has_dyn_sized_stack, 0
	.set _Z6step_4v.has_recursion, 0
	.set _Z6step_4v.has_indirect_call, 0
	.section	.AMDGPU.csdata,"",@progbits
; Kernel info:
; codeLenInByte = 2656
; TotalNumSgprs: 22
; NumVgprs: 16
; ScratchSize: 0
; MemoryBound: 0
; FloatMode: 240
; IeeeMode: 1
; LDSByteSize: 3 bytes/workgroup (compile time only)
; SGPRBlocks: 0
; VGPRBlocks: 0
; NumSGPRsForWavesPerEU: 22
; NumVGPRsForWavesPerEU: 16
; NamedBarCnt: 0
; Occupancy: 16
; WaveLimiterHint : 1
; COMPUTE_PGM_RSRC2:SCRATCH_EN: 0
; COMPUTE_PGM_RSRC2:USER_SGPR: 6
; COMPUTE_PGM_RSRC2:TRAP_HANDLER: 0
; COMPUTE_PGM_RSRC2:TGID_X_EN: 1
; COMPUTE_PGM_RSRC2:TGID_Y_EN: 0
; COMPUTE_PGM_RSRC2:TGID_Z_EN: 0
; COMPUTE_PGM_RSRC2:TIDIG_COMP_CNT: 0
	.text
	.protected	_Z7step_5av             ; -- Begin function _Z7step_5av
	.globl	_Z7step_5av
	.p2align	8
	.type	_Z7step_5av,@function
_Z7step_5av:                            ; @_Z7step_5av
; %bb.0:
	s_bfe_u32 s0, ttmp6, 0x4000c
	s_and_b32 s2, ttmp6, 15
	s_add_co_i32 s0, s0, 1
	s_getreg_b32 s3, hwreg(HW_REG_IB_STS2, 6, 4)
	s_mul_i32 s0, ttmp9, s0
	s_and_b32 s1, s5, 0xffff
	s_add_co_i32 s2, s2, s0
	s_cmp_eq_u32 s3, 0
	s_cselect_b32 s0, ttmp9, s2
	s_mov_b32 s2, exec_lo
	v_mad_u32 v0, s0, s1, v0
	s_get_pc_i64 s[0:1]
	s_add_nc_u64 s[0:1], s[0:1], column_of_prime_at_row@rel64+4
	global_load_b32 v2, v0, s[0:1] scale_offset
	s_wait_loadcnt 0x0
	v_cmpx_lt_i32_e32 -1, v2
	s_cbranch_execz .LBB11_5
; %bb.1:
	v_ashrrev_i32_e32 v1, 31, v0
	s_get_pc_i64 s[2:3]
	s_add_nc_u64 s[2:3], s[2:3], column_of_star_at_row@rel64+4
	s_delay_alu instid0(VALU_DEP_1) | instid1(SALU_CYCLE_1)
	v_lshl_add_u64 v[4:5], v[0:1], 2, s[2:3]
	global_load_b32 v1, v[4:5], off
	s_wait_loadcnt 0x0
	v_cmp_gt_i32_e32 vcc_lo, 0, v1
	s_and_b32 exec_lo, exec_lo, vcc_lo
	s_cbranch_execz .LBB11_5
; %bb.2:
	s_get_pc_i64 s[2:3]
	s_add_nc_u64 s[2:3], s[2:3], row_of_star_at_column@rel64+4
	s_get_pc_i64 s[4:5]
	s_add_nc_u64 s[4:5], s[4:5], row_of_green_at_column@rel64+4
	s_clause 0x1
	global_load_b32 v1, v2, s[2:3] scale_offset
	global_store_b32 v2, v0, s[4:5] scale_offset
	s_wait_loadcnt 0x0
	v_cmp_lt_i32_e32 vcc_lo, -1, v1
	s_wait_xcnt 0x0
	s_and_b32 exec_lo, exec_lo, vcc_lo
	s_cbranch_execz .LBB11_5
; %bb.3:
	s_mov_b32 s6, 0
.LBB11_4:                               ; =>This Inner Loop Header: Depth=1
	global_load_b32 v0, v1, s[0:1] scale_offset
	s_wait_loadcnt 0x0
	s_clause 0x1
	global_store_b32 v0, v1, s[4:5] scale_offset
	global_load_b32 v1, v0, s[2:3] scale_offset
	s_wait_loadcnt 0x0
	v_cmp_gt_i32_e32 vcc_lo, 0, v1
	s_or_b32 s6, vcc_lo, s6
	s_wait_xcnt 0x0
	s_and_not1_b32 exec_lo, exec_lo, s6
	s_cbranch_execnz .LBB11_4
.LBB11_5:
	s_endpgm
	.section	.rodata,"a",@progbits
	.p2align	6, 0x0
	.amdhsa_kernel _Z7step_5av
		.amdhsa_group_segment_fixed_size 0
		.amdhsa_private_segment_fixed_size 0
		.amdhsa_kernarg_size 256
		.amdhsa_user_sgpr_count 6
		.amdhsa_user_sgpr_dispatch_ptr 0
		.amdhsa_user_sgpr_queue_ptr 0
		.amdhsa_user_sgpr_kernarg_segment_ptr 1
		.amdhsa_user_sgpr_dispatch_id 0
		.amdhsa_user_sgpr_kernarg_preload_length 4
		.amdhsa_user_sgpr_kernarg_preload_offset 0
		.amdhsa_user_sgpr_private_segment_size 0
		.amdhsa_wavefront_size32 1
		.amdhsa_uses_dynamic_stack 0
		.amdhsa_enable_private_segment 0
		.amdhsa_system_sgpr_workgroup_id_x 1
		.amdhsa_system_sgpr_workgroup_id_y 0
		.amdhsa_system_sgpr_workgroup_id_z 0
		.amdhsa_system_sgpr_workgroup_info 0
		.amdhsa_system_vgpr_workitem_id 0
		.amdhsa_next_free_vgpr 6
		.amdhsa_next_free_sgpr 7
		.amdhsa_named_barrier_count 0
		.amdhsa_reserve_vcc 1
		.amdhsa_float_round_mode_32 0
		.amdhsa_float_round_mode_16_64 0
		.amdhsa_float_denorm_mode_32 3
		.amdhsa_float_denorm_mode_16_64 3
		.amdhsa_fp16_overflow 0
		.amdhsa_memory_ordered 1
		.amdhsa_forward_progress 1
		.amdhsa_inst_pref_size 3
		.amdhsa_round_robin_scheduling 0
		.amdhsa_exception_fp_ieee_invalid_op 0
		.amdhsa_exception_fp_denorm_src 0
		.amdhsa_exception_fp_ieee_div_zero 0
		.amdhsa_exception_fp_ieee_overflow 0
		.amdhsa_exception_fp_ieee_underflow 0
		.amdhsa_exception_fp_ieee_inexact 0
		.amdhsa_exception_int_div_zero 0
	.end_amdhsa_kernel
	.text
.Lfunc_end11:
	.size	_Z7step_5av, .Lfunc_end11-_Z7step_5av
                                        ; -- End function
	.set _Z7step_5av.num_vgpr, 6
	.set _Z7step_5av.num_agpr, 0
	.set _Z7step_5av.numbered_sgpr, 7
	.set _Z7step_5av.num_named_barrier, 0
	.set _Z7step_5av.private_seg_size, 0
	.set _Z7step_5av.uses_vcc, 1
	.set _Z7step_5av.uses_flat_scratch, 0
	.set _Z7step_5av.has_dyn_sized_stack, 0
	.set _Z7step_5av.has_recursion, 0
	.set _Z7step_5av.has_indirect_call, 0
	.section	.AMDGPU.csdata,"",@progbits
; Kernel info:
; codeLenInByte = 312
; TotalNumSgprs: 9
; NumVgprs: 6
; ScratchSize: 0
; MemoryBound: 0
; FloatMode: 240
; IeeeMode: 1
; LDSByteSize: 0 bytes/workgroup (compile time only)
; SGPRBlocks: 0
; VGPRBlocks: 0
; NumSGPRsForWavesPerEU: 9
; NumVGPRsForWavesPerEU: 6
; NamedBarCnt: 0
; Occupancy: 16
; WaveLimiterHint : 1
; COMPUTE_PGM_RSRC2:SCRATCH_EN: 0
; COMPUTE_PGM_RSRC2:USER_SGPR: 6
; COMPUTE_PGM_RSRC2:TRAP_HANDLER: 0
; COMPUTE_PGM_RSRC2:TGID_X_EN: 1
; COMPUTE_PGM_RSRC2:TGID_Y_EN: 0
; COMPUTE_PGM_RSRC2:TGID_Z_EN: 0
; COMPUTE_PGM_RSRC2:TIDIG_COMP_CNT: 0
	.text
	.protected	_Z7step_5bv             ; -- Begin function _Z7step_5bv
	.globl	_Z7step_5bv
	.p2align	8
	.type	_Z7step_5bv,@function
_Z7step_5bv:                            ; @_Z7step_5bv
; %bb.0:
	s_bfe_u32 s0, ttmp6, 0x4000c
	s_and_b32 s2, ttmp6, 15
	s_add_co_i32 s0, s0, 1
	s_getreg_b32 s3, hwreg(HW_REG_IB_STS2, 6, 4)
	s_mul_i32 s0, ttmp9, s0
	s_and_b32 s1, s5, 0xffff
	s_add_co_i32 s2, s2, s0
	s_cmp_eq_u32 s3, 0
	s_cselect_b32 s0, ttmp9, s2
	s_mov_b32 s2, exec_lo
	v_mad_u32 v0, s0, s1, v0
	s_get_pc_i64 s[0:1]
	s_add_nc_u64 s[0:1], s[0:1], row_of_green_at_column@rel64+4
	global_load_b32 v4, v0, s[0:1] scale_offset
	s_wait_loadcnt 0x0
	v_cmpx_lt_i32_e32 -1, v4
	s_cbranch_execz .LBB12_5
; %bb.1:
	v_ashrrev_i32_e32 v1, 31, v0
	s_get_pc_i64 s[2:3]
	s_add_nc_u64 s[2:3], s[2:3], row_of_star_at_column@rel64+4
	s_delay_alu instid0(VALU_DEP_1) | instid1(SALU_CYCLE_1)
	v_lshl_add_u64 v[2:3], v[0:1], 2, s[2:3]
	global_load_b32 v1, v[2:3], off
	s_wait_loadcnt 0x0
	v_cmp_gt_i32_e32 vcc_lo, 0, v1
	s_and_b32 exec_lo, exec_lo, vcc_lo
	s_cbranch_execz .LBB12_5
; %bb.2:
	s_get_pc_i64 s[4:5]
	s_add_nc_u64 s[4:5], s[4:5], column_of_star_at_row@rel64+4
	s_clause 0x1
	global_load_b32 v1, v4, s[4:5] scale_offset
	global_store_b32 v4, v0, s[4:5] scale_offset
	global_store_b32 v[2:3], v4, off
	s_wait_loadcnt 0x0
	v_cmp_lt_i32_e32 vcc_lo, -1, v1
	s_wait_xcnt 0x0
	s_and_b32 exec_lo, exec_lo, vcc_lo
	s_cbranch_execz .LBB12_5
; %bb.3:
	s_mov_b32 s6, 0
.LBB12_4:                               ; =>This Inner Loop Header: Depth=1
	global_load_b32 v0, v1, s[0:1] scale_offset
	s_wait_loadcnt 0x0
	s_clause 0x1
	global_load_b32 v2, v0, s[4:5] scale_offset
	global_store_b32 v0, v1, s[4:5] scale_offset
	global_store_b32 v1, v0, s[2:3] scale_offset
	s_wait_loadcnt 0x0
	v_cmp_gt_i32_e32 vcc_lo, 0, v2
	s_wait_xcnt 0x0
	v_mov_b32_e32 v1, v2
	s_or_b32 s6, vcc_lo, s6
	s_delay_alu instid0(SALU_CYCLE_1)
	s_and_not1_b32 exec_lo, exec_lo, s6
	s_cbranch_execnz .LBB12_4
.LBB12_5:
	s_endpgm
	.section	.rodata,"a",@progbits
	.p2align	6, 0x0
	.amdhsa_kernel _Z7step_5bv
		.amdhsa_group_segment_fixed_size 0
		.amdhsa_private_segment_fixed_size 0
		.amdhsa_kernarg_size 256
		.amdhsa_user_sgpr_count 6
		.amdhsa_user_sgpr_dispatch_ptr 0
		.amdhsa_user_sgpr_queue_ptr 0
		.amdhsa_user_sgpr_kernarg_segment_ptr 1
		.amdhsa_user_sgpr_dispatch_id 0
		.amdhsa_user_sgpr_kernarg_preload_length 4
		.amdhsa_user_sgpr_kernarg_preload_offset 0
		.amdhsa_user_sgpr_private_segment_size 0
		.amdhsa_wavefront_size32 1
		.amdhsa_uses_dynamic_stack 0
		.amdhsa_enable_private_segment 0
		.amdhsa_system_sgpr_workgroup_id_x 1
		.amdhsa_system_sgpr_workgroup_id_y 0
		.amdhsa_system_sgpr_workgroup_id_z 0
		.amdhsa_system_sgpr_workgroup_info 0
		.amdhsa_system_vgpr_workitem_id 0
		.amdhsa_next_free_vgpr 5
		.amdhsa_next_free_sgpr 7
		.amdhsa_named_barrier_count 0
		.amdhsa_reserve_vcc 1
		.amdhsa_float_round_mode_32 0
		.amdhsa_float_round_mode_16_64 0
		.amdhsa_float_denorm_mode_32 3
		.amdhsa_float_denorm_mode_16_64 3
		.amdhsa_fp16_overflow 0
		.amdhsa_memory_ordered 1
		.amdhsa_forward_progress 1
		.amdhsa_inst_pref_size 3
		.amdhsa_round_robin_scheduling 0
		.amdhsa_exception_fp_ieee_invalid_op 0
		.amdhsa_exception_fp_denorm_src 0
		.amdhsa_exception_fp_ieee_div_zero 0
		.amdhsa_exception_fp_ieee_overflow 0
		.amdhsa_exception_fp_ieee_underflow 0
		.amdhsa_exception_fp_ieee_inexact 0
		.amdhsa_exception_int_div_zero 0
	.end_amdhsa_kernel
	.text
.Lfunc_end12:
	.size	_Z7step_5bv, .Lfunc_end12-_Z7step_5bv
                                        ; -- End function
	.set _Z7step_5bv.num_vgpr, 5
	.set _Z7step_5bv.num_agpr, 0
	.set _Z7step_5bv.numbered_sgpr, 7
	.set _Z7step_5bv.num_named_barrier, 0
	.set _Z7step_5bv.private_seg_size, 0
	.set _Z7step_5bv.uses_vcc, 1
	.set _Z7step_5bv.uses_flat_scratch, 0
	.set _Z7step_5bv.has_dyn_sized_stack, 0
	.set _Z7step_5bv.has_recursion, 0
	.set _Z7step_5bv.has_indirect_call, 0
	.section	.AMDGPU.csdata,"",@progbits
; Kernel info:
; codeLenInByte = 328
; TotalNumSgprs: 9
; NumVgprs: 5
; ScratchSize: 0
; MemoryBound: 0
; FloatMode: 240
; IeeeMode: 1
; LDSByteSize: 0 bytes/workgroup (compile time only)
; SGPRBlocks: 0
; VGPRBlocks: 0
; NumSGPRsForWavesPerEU: 9
; NumVGPRsForWavesPerEU: 5
; NamedBarCnt: 0
; Occupancy: 16
; WaveLimiterHint : 1
; COMPUTE_PGM_RSRC2:SCRATCH_EN: 0
; COMPUTE_PGM_RSRC2:USER_SGPR: 6
; COMPUTE_PGM_RSRC2:TRAP_HANDLER: 0
; COMPUTE_PGM_RSRC2:TGID_X_EN: 1
; COMPUTE_PGM_RSRC2:TGID_Y_EN: 0
; COMPUTE_PGM_RSRC2:TGID_Z_EN: 0
; COMPUTE_PGM_RSRC2:TIDIG_COMP_CNT: 0
	.text
	.protected	_Z14step_6_add_subv     ; -- Begin function _Z14step_6_add_subv
	.globl	_Z14step_6_add_subv
	.p2align	8
	.type	_Z14step_6_add_subv,@function
_Z14step_6_add_subv:                    ; @_Z14step_6_add_subv
; %bb.0:
	s_bfe_u32 s0, ttmp6, 0x4000c
	s_and_b32 s2, ttmp6, 15
	s_add_co_i32 s0, s0, 1
	s_getreg_b32 s3, hwreg(HW_REG_IB_STS2, 6, 4)
	s_mul_i32 s0, ttmp9, s0
	s_and_b32 s1, 0xffff, s5
	s_add_co_i32 s2, s2, s0
	s_cmp_eq_u32 s3, 0
	s_cselect_b32 s0, ttmp9, s2
	s_delay_alu instid0(SALU_CYCLE_1) | instskip(SKIP_2) | instid1(VALU_DEP_1)
	v_mad_u32 v0, s0, s1, v0
	s_get_pc_i64 s[0:1]
	s_add_nc_u64 s[0:1], s[0:1], cover_row@rel64+4
	v_and_b32_e32 v1, 0x3ff, v0
	global_load_b32 v2, v1, s[0:1] scale_offset
	s_wait_xcnt 0x0
	v_ashrrev_i32_e32 v1, 10, v0
	s_mov_b32 s0, exec_lo
	s_wait_loadcnt 0x0
	v_cmpx_lt_i32_e32 0, v2
	s_xor_b32 s0, exec_lo, s0
	s_cbranch_execz .LBB13_5
; %bb.1:
	s_mov_b32 s1, exec_lo
	v_cmpx_eq_u32_e32 1, v2
	s_cbranch_execz .LBB13_4
; %bb.2:
	s_get_pc_i64 s[2:3]
	s_add_nc_u64 s[2:3], s[2:3], cover_column@rel64+4
	global_load_b32 v1, v1, s[2:3] scale_offset
	s_wait_loadcnt 0x0
	v_cmp_eq_u32_e32 vcc_lo, 1, v1
	s_and_b32 exec_lo, exec_lo, vcc_lo
	s_cbranch_execz .LBB13_4
; %bb.3:
	s_get_pc_i64 s[2:3]
	s_add_nc_u64 s[2:3], s[2:3], slack@rel64+4
	s_get_pc_i64 s[4:5]
	s_add_nc_u64 s[4:5], s[4:5], d_min_in_mat@rel64+4
	global_load_b32 v1, v0, s[2:3] scale_offset
	s_load_b32 s4, s[4:5], 0x0
	s_wait_loadcnt 0x0
	s_wait_kmcnt 0x0
	v_add_nc_u32_e32 v1, s4, v1
	global_store_b32 v0, v1, s[2:3] scale_offset
.LBB13_4:
	s_wait_xcnt 0x0
	s_or_b32 exec_lo, exec_lo, s1
                                        ; implicit-def: $vgpr2
                                        ; implicit-def: $vgpr1
.LBB13_5:
	s_and_not1_saveexec_b32 s0, s0
	s_cbranch_execz .LBB13_10
; %bb.6:
	s_mov_b32 s1, exec_lo
	v_cmpx_eq_u32_e32 0, v2
	s_cbranch_execz .LBB13_9
; %bb.7:
	s_get_pc_i64 s[2:3]
	s_add_nc_u64 s[2:3], s[2:3], cover_column@rel64+4
	global_load_b32 v1, v1, s[2:3] scale_offset
	s_wait_loadcnt 0x0
	v_cmp_eq_u32_e32 vcc_lo, 0, v1
	s_wait_xcnt 0x0
	s_and_b32 exec_lo, exec_lo, vcc_lo
	s_cbranch_execz .LBB13_9
; %bb.8:
	s_get_pc_i64 s[2:3]
	s_add_nc_u64 s[2:3], s[2:3], slack@rel64+4
	s_get_pc_i64 s[4:5]
	s_add_nc_u64 s[4:5], s[4:5], d_min_in_mat@rel64+4
	global_load_b32 v1, v0, s[2:3] scale_offset
	s_load_b32 s4, s[4:5], 0x0
	s_wait_loadcnt 0x0
	s_wait_kmcnt 0x0
	v_subrev_nc_u32_e32 v1, s4, v1
	global_store_b32 v0, v1, s[2:3] scale_offset
.LBB13_9:
	s_wait_xcnt 0x0
	s_or_b32 exec_lo, exec_lo, s1
.LBB13_10:
	s_delay_alu instid0(SALU_CYCLE_1) | instskip(NEXT) | instid1(SALU_CYCLE_1)
	s_or_b32 exec_lo, exec_lo, s0
	s_mov_b32 s0, exec_lo
	v_cmpx_eq_u32_e32 0, v0
	s_cbranch_execz .LBB13_12
; %bb.11:
	s_get_pc_i64 s[2:3]
	s_add_nc_u64 s[2:3], s[2:3], zeros_size@rel64+4
	v_mov_b32_e32 v1, 0
	s_load_b64 s[2:3], s[2:3], 0x0
	s_wait_kmcnt 0x0
	global_store_b32 v1, v1, s[2:3]
.LBB13_12:
	s_wait_xcnt 0x0
	s_or_b32 exec_lo, exec_lo, s0
	s_delay_alu instid0(SALU_CYCLE_1)
	s_mov_b32 s0, exec_lo
	v_cmpx_gt_i32_e32 2, v0
	s_cbranch_execz .LBB13_14
; %bb.13:
	v_mov_b32_e32 v1, 0
	s_get_pc_i64 s[0:1]
	s_add_nc_u64 s[0:1], s[0:1], zeros_size_b@rel64+4
	global_store_b32 v0, v1, s[0:1] scale_offset
.LBB13_14:
	s_endpgm
	.section	.rodata,"a",@progbits
	.p2align	6, 0x0
	.amdhsa_kernel _Z14step_6_add_subv
		.amdhsa_group_segment_fixed_size 0
		.amdhsa_private_segment_fixed_size 0
		.amdhsa_kernarg_size 256
		.amdhsa_user_sgpr_count 6
		.amdhsa_user_sgpr_dispatch_ptr 0
		.amdhsa_user_sgpr_queue_ptr 0
		.amdhsa_user_sgpr_kernarg_segment_ptr 1
		.amdhsa_user_sgpr_dispatch_id 0
		.amdhsa_user_sgpr_kernarg_preload_length 4
		.amdhsa_user_sgpr_kernarg_preload_offset 0
		.amdhsa_user_sgpr_private_segment_size 0
		.amdhsa_wavefront_size32 1
		.amdhsa_uses_dynamic_stack 0
		.amdhsa_enable_private_segment 0
		.amdhsa_system_sgpr_workgroup_id_x 1
		.amdhsa_system_sgpr_workgroup_id_y 0
		.amdhsa_system_sgpr_workgroup_id_z 0
		.amdhsa_system_sgpr_workgroup_info 0
		.amdhsa_system_vgpr_workitem_id 0
		.amdhsa_next_free_vgpr 3
		.amdhsa_next_free_sgpr 6
		.amdhsa_named_barrier_count 0
		.amdhsa_reserve_vcc 1
		.amdhsa_float_round_mode_32 0
		.amdhsa_float_round_mode_16_64 0
		.amdhsa_float_denorm_mode_32 3
		.amdhsa_float_denorm_mode_16_64 3
		.amdhsa_fp16_overflow 0
		.amdhsa_memory_ordered 1
		.amdhsa_forward_progress 1
		.amdhsa_inst_pref_size 5
		.amdhsa_round_robin_scheduling 0
		.amdhsa_exception_fp_ieee_invalid_op 0
		.amdhsa_exception_fp_denorm_src 0
		.amdhsa_exception_fp_ieee_div_zero 0
		.amdhsa_exception_fp_ieee_overflow 0
		.amdhsa_exception_fp_ieee_underflow 0
		.amdhsa_exception_fp_ieee_inexact 0
		.amdhsa_exception_int_div_zero 0
	.end_amdhsa_kernel
	.text
.Lfunc_end13:
	.size	_Z14step_6_add_subv, .Lfunc_end13-_Z14step_6_add_subv
                                        ; -- End function
	.set _Z14step_6_add_subv.num_vgpr, 3
	.set _Z14step_6_add_subv.num_agpr, 0
	.set _Z14step_6_add_subv.numbered_sgpr, 6
	.set _Z14step_6_add_subv.num_named_barrier, 0
	.set _Z14step_6_add_subv.private_seg_size, 0
	.set _Z14step_6_add_subv.uses_vcc, 1
	.set _Z14step_6_add_subv.uses_flat_scratch, 0
	.set _Z14step_6_add_subv.has_dyn_sized_stack, 0
	.set _Z14step_6_add_subv.has_recursion, 0
	.set _Z14step_6_add_subv.has_indirect_call, 0
	.section	.AMDGPU.csdata,"",@progbits
; Kernel info:
; codeLenInByte = 536
; TotalNumSgprs: 8
; NumVgprs: 3
; ScratchSize: 0
; MemoryBound: 0
; FloatMode: 240
; IeeeMode: 1
; LDSByteSize: 0 bytes/workgroup (compile time only)
; SGPRBlocks: 0
; VGPRBlocks: 0
; NumSGPRsForWavesPerEU: 8
; NumVGPRsForWavesPerEU: 3
; NamedBarCnt: 0
; Occupancy: 16
; WaveLimiterHint : 1
; COMPUTE_PGM_RSRC2:SCRATCH_EN: 0
; COMPUTE_PGM_RSRC2:USER_SGPR: 6
; COMPUTE_PGM_RSRC2:TRAP_HANDLER: 0
; COMPUTE_PGM_RSRC2:TGID_X_EN: 1
; COMPUTE_PGM_RSRC2:TGID_Y_EN: 0
; COMPUTE_PGM_RSRC2:TGID_Z_EN: 0
; COMPUTE_PGM_RSRC2:TIDIG_COMP_CNT: 0
	.text
	.protected	_Z18min_reduce_kernel1v ; -- Begin function _Z18min_reduce_kernel1v
	.globl	_Z18min_reduce_kernel1v
	.p2align	8
	.type	_Z18min_reduce_kernel1v,@function
_Z18min_reduce_kernel1v:                ; @_Z18min_reduce_kernel1v
; %bb.0:
	s_bfe_u32 s0, ttmp6, 0x4000c
	s_and_b32 s1, ttmp6, 15
	s_add_co_i32 s0, s0, 1
	s_getreg_b32 s3, hwreg(HW_REG_IB_STS2, 6, 4)
	s_mul_i32 s0, ttmp9, s0
	v_lshl_add_u32 v2, v0, 2, 0
	s_add_co_i32 s1, s1, s0
	s_cmp_eq_u32 s3, 0
	v_bfrev_b32_e32 v1, -2
	s_cselect_b32 s3, ttmp9, s1
	s_mov_b32 s11, 0
	v_lshl_add_u32 v3, s3, 9, v0
	s_mov_b32 s10, exec_lo
	ds_store_b32 v2, v1
	v_cmpx_gt_u32_e32 0x100000, v3
	s_cbranch_execz .LBB14_12
; %bb.1:
	s_lshl_b32 s2, s2, 9
	s_get_pc_i64 s[0:1]
	s_add_nc_u64 s[0:1], s[0:1], cover_row@rel64+4
	s_get_pc_i64 s[4:5]
	s_add_nc_u64 s[4:5], s[4:5], cover_column@rel64+4
	s_get_pc_i64 s[6:7]
	s_add_nc_u64 s[6:7], s[6:7], slack@rel64+4
	s_get_pc_i64 s[8:9]
	s_add_nc_u64 s[8:9], s[8:9], slack@rel64+1028
	s_branch .LBB14_4
.LBB14_2:                               ;   in Loop: Header=BB14_4 Depth=1
	s_or_b32 exec_lo, exec_lo, s13
.LBB14_3:                               ;   in Loop: Header=BB14_4 Depth=1
	s_delay_alu instid0(SALU_CYCLE_1) | instskip(SKIP_2) | instid1(VALU_DEP_1)
	s_or_b32 exec_lo, exec_lo, s12
	s_wait_dscnt 0x0
	v_dual_add_nc_u32 v3, s2, v3 :: v_dual_min_i32 v1, v1, v4
	v_cmp_lt_u32_e32 vcc_lo, 0xfffff, v3
	s_or_b32 s11, vcc_lo, s11
	s_delay_alu instid0(SALU_CYCLE_1)
	s_and_not1_b32 exec_lo, exec_lo, s11
	s_cbranch_execz .LBB14_11
.LBB14_4:                               ; =>This Inner Loop Header: Depth=1
	v_and_b32_e32 v4, 0x3ff, v3
	global_load_b32 v4, v4, s[0:1] scale_offset
	s_wait_loadcnt 0x0
	v_cmp_ne_u32_e32 vcc_lo, 1, v4
	v_bfrev_b32_e32 v4, -2
	s_and_saveexec_b32 s12, vcc_lo
	s_cbranch_execz .LBB14_8
; %bb.5:                                ;   in Loop: Header=BB14_4 Depth=1
	v_lshrrev_b32_e32 v4, 8, v3
	s_delay_alu instid0(VALU_DEP_1)
	v_and_b32_e32 v4, 0xfffffc, v4
	global_load_b32 v4, v4, s[4:5]
	s_wait_loadcnt 0x0
	v_cmp_ne_u32_e32 vcc_lo, 1, v4
	v_bfrev_b32_e32 v4, -2
	s_and_saveexec_b32 s13, vcc_lo
	s_cbranch_execz .LBB14_7
; %bb.6:                                ;   in Loop: Header=BB14_4 Depth=1
	flat_load_b32 v4, v3, s[6:7] scale_offset scope:SCOPE_SYS
	s_wait_loadcnt 0x0
.LBB14_7:                               ;   in Loop: Header=BB14_4 Depth=1
	s_wait_xcnt 0x0
	s_or_b32 exec_lo, exec_lo, s13
.LBB14_8:                               ;   in Loop: Header=BB14_4 Depth=1
	s_delay_alu instid0(SALU_CYCLE_1) | instskip(SKIP_2) | instid1(VALU_DEP_1)
	s_or_b32 exec_lo, exec_lo, s12
	v_add_nc_u32_e32 v5, 0x100, v3
	s_mov_b32 s12, exec_lo
	v_and_b32_e32 v6, 0x3ff, v5
	global_load_b32 v6, v6, s[0:1] scale_offset
	s_wait_loadcnt 0x0
	v_cmpx_ne_u32_e32 1, v6
	s_cbranch_execz .LBB14_3
; %bb.9:                                ;   in Loop: Header=BB14_4 Depth=1
	v_lshrrev_b32_e32 v5, 8, v5
	s_mov_b32 s13, exec_lo
	s_delay_alu instid0(VALU_DEP_1)
	v_and_b32_e32 v5, 0xfffffc, v5
	global_load_b32 v5, v5, s[4:5]
	s_wait_loadcnt 0x0
	v_cmpx_ne_u32_e32 1, v5
	s_cbranch_execz .LBB14_2
; %bb.10:                               ;   in Loop: Header=BB14_4 Depth=1
	flat_load_b32 v5, v3, s[8:9] scale_offset scope:SCOPE_SYS
	s_wait_loadcnt_dscnt 0x0
	v_min_i32_e32 v4, v4, v5
	s_branch .LBB14_2
.LBB14_11:
	s_or_b32 exec_lo, exec_lo, s11
	ds_store_b32 v2, v1
.LBB14_12:
	s_or_b32 exec_lo, exec_lo, s10
	s_delay_alu instid0(SALU_CYCLE_1)
	s_mov_b32 s0, exec_lo
	s_wait_dscnt 0x0
	s_barrier_signal -1
	s_barrier_wait -1
	v_cmpx_gt_u32_e32 0x80, v0
	s_cbranch_execz .LBB14_14
; %bb.13:
	ds_load_2addr_stride64_b32 v[4:5], v2 offset1:2
	s_wait_dscnt 0x0
	v_min_i32_e32 v1, v4, v5
	ds_store_b32 v2, v1
.LBB14_14:
	s_or_b32 exec_lo, exec_lo, s0
	s_delay_alu instid0(SALU_CYCLE_1)
	s_mov_b32 s0, exec_lo
	s_wait_dscnt 0x0
	s_barrier_signal -1
	s_barrier_wait -1
	v_cmpx_gt_u32_e32 64, v0
	s_cbranch_execz .LBB14_16
; %bb.15:
	ds_load_2addr_stride64_b32 v[4:5], v2 offset1:1
	s_wait_dscnt 0x0
	v_min_i32_e32 v1, v4, v5
	ds_store_b32 v2, v1
.LBB14_16:
	s_or_b32 exec_lo, exec_lo, s0
	s_delay_alu instid0(SALU_CYCLE_1)
	s_mov_b32 s0, exec_lo
	s_wait_dscnt 0x0
	s_barrier_signal -1
	s_barrier_wait -1
	v_cmpx_gt_u32_e32 32, v0
	s_cbranch_execz .LBB14_18
; %bb.17:
	s_mov_b64 s[4:5], src_shared_base
	s_delay_alu instid0(SALU_CYCLE_1)
	v_dual_mov_b32 v3, s5 :: v_dual_add_nc_u32 v4, 0x80, v2
	v_mov_b32_e32 v5, s5
	flat_load_b32 v1, v[2:3] scope:SCOPE_SYS
	s_wait_loadcnt 0x0
	flat_load_b32 v6, v[4:5] scope:SCOPE_SYS
	s_wait_loadcnt 0x0
	s_wait_xcnt 0x0
	v_add_nc_u32_e32 v4, 64, v2
	s_wait_dscnt 0x0
	v_min_i32_e32 v1, v1, v6
	flat_store_b32 v[2:3], v1 scope:SCOPE_SYS
	s_wait_storecnt 0x0
	flat_load_b32 v1, v[2:3] scope:SCOPE_SYS
	s_wait_loadcnt 0x0
	flat_load_b32 v6, v[4:5] scope:SCOPE_SYS
	s_wait_loadcnt 0x0
	s_wait_xcnt 0x0
	v_add_nc_u32_e32 v4, 32, v2
	s_wait_dscnt 0x0
	v_min_i32_e32 v1, v1, v6
	flat_store_b32 v[2:3], v1 scope:SCOPE_SYS
	s_wait_storecnt 0x0
	;; [unrolled: 10-line block ×5, first 2 shown]
	flat_load_b32 v1, v[2:3] scope:SCOPE_SYS
	s_wait_loadcnt 0x0
	flat_load_b32 v6, v[4:5] scope:SCOPE_SYS
	s_wait_loadcnt_dscnt 0x0
	v_min_i32_e32 v1, v1, v6
	flat_store_b32 v[2:3], v1 scope:SCOPE_SYS
	s_wait_storecnt 0x0
.LBB14_18:
	s_wait_xcnt 0x0
	s_or_b32 exec_lo, exec_lo, s0
	s_delay_alu instid0(SALU_CYCLE_1)
	s_mov_b32 s0, exec_lo
	v_cmpx_eq_u32_e32 0, v0
	s_cbranch_execz .LBB14_20
; %bb.19:
	v_dual_mov_b32 v0, 0 :: v_dual_mov_b32 v1, s3
	s_get_pc_i64 s[0:1]
	s_add_nc_u64 s[0:1], s[0:1], d_min_in_mat_vect@rel64+4
	ds_load_b32 v0, v0
	s_wait_dscnt 0x0
	flat_store_b32 v1, v0, s[0:1] scale_offset scope:SCOPE_SYS
	s_wait_storecnt 0x0
.LBB14_20:
	s_endpgm
	.section	.rodata,"a",@progbits
	.p2align	6, 0x0
	.amdhsa_kernel _Z18min_reduce_kernel1v
		.amdhsa_group_segment_fixed_size 0
		.amdhsa_private_segment_fixed_size 0
		.amdhsa_kernarg_size 256
		.amdhsa_user_sgpr_count 3
		.amdhsa_user_sgpr_dispatch_ptr 0
		.amdhsa_user_sgpr_queue_ptr 0
		.amdhsa_user_sgpr_kernarg_segment_ptr 1
		.amdhsa_user_sgpr_dispatch_id 0
		.amdhsa_user_sgpr_kernarg_preload_length 1
		.amdhsa_user_sgpr_kernarg_preload_offset 0
		.amdhsa_user_sgpr_private_segment_size 0
		.amdhsa_wavefront_size32 1
		.amdhsa_uses_dynamic_stack 0
		.amdhsa_enable_private_segment 0
		.amdhsa_system_sgpr_workgroup_id_x 1
		.amdhsa_system_sgpr_workgroup_id_y 0
		.amdhsa_system_sgpr_workgroup_id_z 0
		.amdhsa_system_sgpr_workgroup_info 0
		.amdhsa_system_vgpr_workitem_id 0
		.amdhsa_next_free_vgpr 7
		.amdhsa_next_free_sgpr 14
		.amdhsa_named_barrier_count 0
		.amdhsa_reserve_vcc 1
		.amdhsa_float_round_mode_32 0
		.amdhsa_float_round_mode_16_64 0
		.amdhsa_float_denorm_mode_32 3
		.amdhsa_float_denorm_mode_16_64 3
		.amdhsa_fp16_overflow 0
		.amdhsa_memory_ordered 1
		.amdhsa_forward_progress 1
		.amdhsa_inst_pref_size 9
		.amdhsa_round_robin_scheduling 0
		.amdhsa_exception_fp_ieee_invalid_op 0
		.amdhsa_exception_fp_denorm_src 0
		.amdhsa_exception_fp_ieee_div_zero 0
		.amdhsa_exception_fp_ieee_overflow 0
		.amdhsa_exception_fp_ieee_underflow 0
		.amdhsa_exception_fp_ieee_inexact 0
		.amdhsa_exception_int_div_zero 0
	.end_amdhsa_kernel
	.text
.Lfunc_end14:
	.size	_Z18min_reduce_kernel1v, .Lfunc_end14-_Z18min_reduce_kernel1v
                                        ; -- End function
	.set _Z18min_reduce_kernel1v.num_vgpr, 7
	.set _Z18min_reduce_kernel1v.num_agpr, 0
	.set _Z18min_reduce_kernel1v.numbered_sgpr, 14
	.set _Z18min_reduce_kernel1v.num_named_barrier, 0
	.set _Z18min_reduce_kernel1v.private_seg_size, 0
	.set _Z18min_reduce_kernel1v.uses_vcc, 1
	.set _Z18min_reduce_kernel1v.uses_flat_scratch, 0
	.set _Z18min_reduce_kernel1v.has_dyn_sized_stack, 0
	.set _Z18min_reduce_kernel1v.has_recursion, 0
	.set _Z18min_reduce_kernel1v.has_indirect_call, 0
	.section	.AMDGPU.csdata,"",@progbits
; Kernel info:
; codeLenInByte = 1076
; TotalNumSgprs: 16
; NumVgprs: 7
; ScratchSize: 0
; MemoryBound: 0
; FloatMode: 240
; IeeeMode: 1
; LDSByteSize: 0 bytes/workgroup (compile time only)
; SGPRBlocks: 0
; VGPRBlocks: 0
; NumSGPRsForWavesPerEU: 16
; NumVGPRsForWavesPerEU: 7
; NamedBarCnt: 0
; Occupancy: 16
; WaveLimiterHint : 0
; COMPUTE_PGM_RSRC2:SCRATCH_EN: 0
; COMPUTE_PGM_RSRC2:USER_SGPR: 3
; COMPUTE_PGM_RSRC2:TRAP_HANDLER: 0
; COMPUTE_PGM_RSRC2:TGID_X_EN: 1
; COMPUTE_PGM_RSRC2:TGID_Y_EN: 0
; COMPUTE_PGM_RSRC2:TGID_Z_EN: 0
; COMPUTE_PGM_RSRC2:TIDIG_COMP_CNT: 0
	.text
	.protected	_Z18min_reduce_kernel2v ; -- Begin function _Z18min_reduce_kernel2v
	.globl	_Z18min_reduce_kernel2v
	.p2align	8
	.type	_Z18min_reduce_kernel2v,@function
_Z18min_reduce_kernel2v:                ; @_Z18min_reduce_kernel2v
; %bb.0:
	s_bfe_u32 s0, ttmp6, 0x4000c
	s_and_b32 s1, ttmp6, 15
	s_add_co_i32 s0, s0, 1
	s_getreg_b32 s2, hwreg(HW_REG_IB_STS2, 6, 4)
	s_mul_i32 s0, ttmp9, s0
	s_delay_alu instid0(SALU_CYCLE_1)
	s_add_co_i32 s1, s1, s0
	s_cmp_eq_u32 s2, 0
	s_get_pc_i64 s[2:3]
	s_add_nc_u64 s[2:3], s[2:3], d_min_in_mat_vect@rel64+4
	s_cselect_b32 s0, ttmp9, s1
	s_mov_b32 s1, exec_lo
	v_lshl_add_u32 v1, s0, 8, v0
	s_delay_alu instid0(VALU_DEP_1)
	v_add_nc_u32_e32 v2, 0x80, v1
	flat_load_b32 v3, v1, s[2:3] scale_offset scope:SCOPE_SYS
	s_wait_loadcnt 0x0
	flat_load_b32 v4, v2, s[2:3] scale_offset scope:SCOPE_SYS
	s_wait_loadcnt 0x0
	s_wait_xcnt 0x0
	v_lshl_add_u32 v2, v0, 2, 0
	s_wait_dscnt 0x0
	v_min_i32_e32 v1, v3, v4
	ds_store_b32 v2, v1
	s_wait_dscnt 0x0
	s_barrier_signal -1
	s_barrier_wait -1
	v_cmpx_gt_u32_e32 64, v0
	s_cbranch_execz .LBB15_2
; %bb.1:
	ds_load_2addr_stride64_b32 v[4:5], v2 offset1:1
	s_wait_dscnt 0x0
	v_min_i32_e32 v1, v4, v5
	ds_store_b32 v2, v1
.LBB15_2:
	s_or_b32 exec_lo, exec_lo, s1
	s_delay_alu instid0(SALU_CYCLE_1)
	s_mov_b32 s1, exec_lo
	s_wait_dscnt 0x0
	s_barrier_signal -1
	s_barrier_wait -1
	v_cmpx_gt_u32_e32 32, v0
	s_cbranch_execz .LBB15_4
; %bb.3:
	s_mov_b64 s[2:3], src_shared_base
	s_delay_alu instid0(SALU_CYCLE_1)
	v_dual_mov_b32 v3, s3 :: v_dual_add_nc_u32 v4, 0x80, v2
	v_mov_b32_e32 v5, s3
	flat_load_b32 v1, v[2:3] scope:SCOPE_SYS
	s_wait_loadcnt 0x0
	flat_load_b32 v6, v[4:5] scope:SCOPE_SYS
	s_wait_loadcnt 0x0
	s_wait_xcnt 0x0
	v_add_nc_u32_e32 v4, 64, v2
	s_wait_dscnt 0x0
	v_min_i32_e32 v1, v1, v6
	flat_store_b32 v[2:3], v1 scope:SCOPE_SYS
	s_wait_storecnt 0x0
	flat_load_b32 v1, v[2:3] scope:SCOPE_SYS
	s_wait_loadcnt 0x0
	flat_load_b32 v6, v[4:5] scope:SCOPE_SYS
	s_wait_loadcnt 0x0
	s_wait_xcnt 0x0
	v_add_nc_u32_e32 v4, 32, v2
	s_wait_dscnt 0x0
	v_min_i32_e32 v1, v1, v6
	flat_store_b32 v[2:3], v1 scope:SCOPE_SYS
	s_wait_storecnt 0x0
	;; [unrolled: 10-line block ×5, first 2 shown]
	flat_load_b32 v1, v[2:3] scope:SCOPE_SYS
	s_wait_loadcnt 0x0
	flat_load_b32 v6, v[4:5] scope:SCOPE_SYS
	s_wait_loadcnt_dscnt 0x0
	v_min_i32_e32 v1, v1, v6
	flat_store_b32 v[2:3], v1 scope:SCOPE_SYS
	s_wait_storecnt 0x0
.LBB15_4:
	s_wait_xcnt 0x0
	s_or_b32 exec_lo, exec_lo, s1
	s_delay_alu instid0(SALU_CYCLE_1)
	s_mov_b32 s1, exec_lo
	v_cmpx_eq_u32_e32 0, v0
	s_cbranch_execz .LBB15_6
; %bb.5:
	v_dual_mov_b32 v0, 0 :: v_dual_mov_b32 v1, s0
	s_get_pc_i64 s[2:3]
	s_add_nc_u64 s[2:3], s[2:3], d_min_in_mat@rel64+4
	ds_load_b32 v0, v0
	s_wait_dscnt 0x0
	flat_store_b32 v1, v0, s[2:3] scale_offset scope:SCOPE_SYS
	s_wait_storecnt 0x0
.LBB15_6:
	s_endpgm
	.section	.rodata,"a",@progbits
	.p2align	6, 0x0
	.amdhsa_kernel _Z18min_reduce_kernel2v
		.amdhsa_group_segment_fixed_size 0
		.amdhsa_private_segment_fixed_size 0
		.amdhsa_kernarg_size 0
		.amdhsa_user_sgpr_count 0
		.amdhsa_user_sgpr_dispatch_ptr 0
		.amdhsa_user_sgpr_queue_ptr 0
		.amdhsa_user_sgpr_kernarg_segment_ptr 0
		.amdhsa_user_sgpr_dispatch_id 0
		.amdhsa_user_sgpr_kernarg_preload_length 0
		.amdhsa_user_sgpr_kernarg_preload_offset 0
		.amdhsa_user_sgpr_private_segment_size 0
		.amdhsa_wavefront_size32 1
		.amdhsa_uses_dynamic_stack 0
		.amdhsa_enable_private_segment 0
		.amdhsa_system_sgpr_workgroup_id_x 1
		.amdhsa_system_sgpr_workgroup_id_y 0
		.amdhsa_system_sgpr_workgroup_id_z 0
		.amdhsa_system_sgpr_workgroup_info 0
		.amdhsa_system_vgpr_workitem_id 0
		.amdhsa_next_free_vgpr 7
		.amdhsa_next_free_sgpr 4
		.amdhsa_named_barrier_count 0
		.amdhsa_reserve_vcc 0
		.amdhsa_float_round_mode_32 0
		.amdhsa_float_round_mode_16_64 0
		.amdhsa_float_denorm_mode_32 3
		.amdhsa_float_denorm_mode_16_64 3
		.amdhsa_fp16_overflow 0
		.amdhsa_memory_ordered 1
		.amdhsa_forward_progress 1
		.amdhsa_inst_pref_size 6
		.amdhsa_round_robin_scheduling 0
		.amdhsa_exception_fp_ieee_invalid_op 0
		.amdhsa_exception_fp_denorm_src 0
		.amdhsa_exception_fp_ieee_div_zero 0
		.amdhsa_exception_fp_ieee_overflow 0
		.amdhsa_exception_fp_ieee_underflow 0
		.amdhsa_exception_fp_ieee_inexact 0
		.amdhsa_exception_int_div_zero 0
	.end_amdhsa_kernel
	.text
.Lfunc_end15:
	.size	_Z18min_reduce_kernel2v, .Lfunc_end15-_Z18min_reduce_kernel2v
                                        ; -- End function
	.set _Z18min_reduce_kernel2v.num_vgpr, 7
	.set _Z18min_reduce_kernel2v.num_agpr, 0
	.set _Z18min_reduce_kernel2v.numbered_sgpr, 4
	.set _Z18min_reduce_kernel2v.num_named_barrier, 0
	.set _Z18min_reduce_kernel2v.private_seg_size, 0
	.set _Z18min_reduce_kernel2v.uses_vcc, 0
	.set _Z18min_reduce_kernel2v.uses_flat_scratch, 0
	.set _Z18min_reduce_kernel2v.has_dyn_sized_stack, 0
	.set _Z18min_reduce_kernel2v.has_recursion, 0
	.set _Z18min_reduce_kernel2v.has_indirect_call, 0
	.section	.AMDGPU.csdata,"",@progbits
; Kernel info:
; codeLenInByte = 692
; TotalNumSgprs: 4
; NumVgprs: 7
; ScratchSize: 0
; MemoryBound: 0
; FloatMode: 240
; IeeeMode: 1
; LDSByteSize: 0 bytes/workgroup (compile time only)
; SGPRBlocks: 0
; VGPRBlocks: 0
; NumSGPRsForWavesPerEU: 4
; NumVGPRsForWavesPerEU: 7
; NamedBarCnt: 0
; Occupancy: 16
; WaveLimiterHint : 0
; COMPUTE_PGM_RSRC2:SCRATCH_EN: 0
; COMPUTE_PGM_RSRC2:USER_SGPR: 0
; COMPUTE_PGM_RSRC2:TRAP_HANDLER: 0
; COMPUTE_PGM_RSRC2:TGID_X_EN: 1
; COMPUTE_PGM_RSRC2:TGID_Y_EN: 0
; COMPUTE_PGM_RSRC2:TGID_Z_EN: 0
; COMPUTE_PGM_RSRC2:TIDIG_COMP_CNT: 0
	.text
	.p2alignl 7, 3214868480
	.fill 96, 4, 3214868480
	.section	.AMDGPU.gpr_maximums,"",@progbits
	.set amdgpu.max_num_vgpr, 0
	.set amdgpu.max_num_agpr, 0
	.set amdgpu.max_num_sgpr, 0
	.text
	.protected	slack                   ; @slack
	.type	slack,@object
	.section	.bss,"aw",@nobits
	.globl	slack
	.p2align	4, 0x0
slack:
	.zero	4194304
	.size	slack, 4194304

	.protected	min_in_rows             ; @min_in_rows
	.type	min_in_rows,@object
	.globl	min_in_rows
	.p2align	4, 0x0
min_in_rows:
	.zero	4096
	.size	min_in_rows, 4096

	.protected	min_in_cols             ; @min_in_cols
	.type	min_in_cols,@object
	.globl	min_in_cols
	.p2align	4, 0x0
min_in_cols:
	.zero	4096
	.size	min_in_cols, 4096

	.protected	zeros                   ; @zeros
	.type	zeros,@object
	.globl	zeros
	.p2align	4, 0x0
zeros:
	.zero	4194304
	.size	zeros, 4194304

	.protected	zeros_size_b            ; @zeros_size_b
	.type	zeros_size_b,@object
	.globl	zeros_size_b
	.p2align	2, 0x0
zeros_size_b:
	.zero	8
	.size	zeros_size_b, 8

	.protected	row_of_star_at_column   ; @row_of_star_at_column
	.type	row_of_star_at_column,@object
	.globl	row_of_star_at_column
	.p2align	4, 0x0
row_of_star_at_column:
	.zero	4096
	.size	row_of_star_at_column, 4096

	.protected	column_of_star_at_row   ; @column_of_star_at_row
	.type	column_of_star_at_row,@object
	.globl	column_of_star_at_row
	.p2align	4, 0x0
column_of_star_at_row:
	.zero	4096
	.size	column_of_star_at_row, 4096

	.protected	cover_row               ; @cover_row
	.type	cover_row,@object
	.globl	cover_row
	.p2align	4, 0x0
cover_row:
	.zero	4096
	.size	cover_row, 4096

	.protected	cover_column            ; @cover_column
	.type	cover_column,@object
	.globl	cover_column
	.p2align	4, 0x0
cover_column:
	.zero	4096
	.size	cover_column, 4096

	.protected	column_of_prime_at_row  ; @column_of_prime_at_row
	.type	column_of_prime_at_row,@object
	.globl	column_of_prime_at_row
	.p2align	4, 0x0
column_of_prime_at_row:
	.zero	4096
	.size	column_of_prime_at_row, 4096

	.protected	row_of_green_at_column  ; @row_of_green_at_column
	.type	row_of_green_at_column,@object
	.globl	row_of_green_at_column
	.p2align	4, 0x0
row_of_green_at_column:
	.zero	4096
	.size	row_of_green_at_column, 4096

	.protected	max_in_mat_row          ; @max_in_mat_row
	.type	max_in_mat_row,@object
	.globl	max_in_mat_row
	.p2align	4, 0x0
max_in_mat_row:
	.zero	4096
	.size	max_in_mat_row, 4096

	.protected	min_in_mat_col          ; @min_in_mat_col
	.type	min_in_mat_col,@object
	.globl	min_in_mat_col
	.p2align	4, 0x0
min_in_mat_col:
	.zero	4096
	.size	min_in_mat_col, 4096

	.protected	d_min_in_mat_vect       ; @d_min_in_mat_vect
	.type	d_min_in_mat_vect,@object
	.globl	d_min_in_mat_vect
	.p2align	4, 0x0
d_min_in_mat_vect:
	.zero	1024
	.size	d_min_in_mat_vect, 1024

	.protected	d_min_in_mat            ; @d_min_in_mat
	.type	d_min_in_mat,@object
	.globl	d_min_in_mat
	.p2align	2, 0x0
d_min_in_mat:
	.long	0                               ; 0x0
	.size	d_min_in_mat, 4

	.protected	zeros_size.managed      ; @zeros_size.managed
	.type	zeros_size.managed,@object
	.globl	zeros_size.managed
	.p2align	2, 0x0
zeros_size.managed:
	.long	0                               ; 0x0
	.size	zeros_size.managed, 4

	.protected	n_matches.managed       ; @n_matches.managed
	.type	n_matches.managed,@object
	.globl	n_matches.managed
	.p2align	2, 0x0
n_matches.managed:
	.long	0                               ; 0x0
	.size	n_matches.managed, 4

	.protected	goto_5.managed          ; @goto_5.managed
	.type	goto_5.managed,@object
	.globl	goto_5.managed
goto_5.managed:
	.byte	0                               ; 0x0
	.size	goto_5.managed, 1

	.protected	repeat_kernel.managed   ; @repeat_kernel.managed
	.type	repeat_kernel.managed,@object
	.globl	repeat_kernel.managed
repeat_kernel.managed:
	.byte	0                               ; 0x0
	.size	repeat_kernel.managed, 1

	.protected	zeros_size              ; @zeros_size
	.type	zeros_size,@object
	.globl	zeros_size
	.p2align	3, 0x0
zeros_size:
	.quad	0
	.size	zeros_size, 8

	.protected	n_matches               ; @n_matches
	.type	n_matches,@object
	.globl	n_matches
	.p2align	3, 0x0
n_matches:
	.quad	0
	.size	n_matches, 8

	.protected	goto_5                  ; @goto_5
	.type	goto_5,@object
	.globl	goto_5
	.p2align	3, 0x0
goto_5:
	.quad	0
	.size	goto_5, 8

	.protected	repeat_kernel           ; @repeat_kernel
	.type	repeat_kernel,@object
	.globl	repeat_kernel
	.p2align	3, 0x0
repeat_kernel:
	.quad	0
	.size	repeat_kernel, 8

	.type	__hip_cuid_a74510d1f15ca1c,@object ; @__hip_cuid_a74510d1f15ca1c
	.globl	__hip_cuid_a74510d1f15ca1c
__hip_cuid_a74510d1f15ca1c:
	.byte	0                               ; 0x0
	.size	__hip_cuid_a74510d1f15ca1c, 1

	.ident	"AMD clang version 22.0.0git (https://github.com/RadeonOpenCompute/llvm-project roc-7.2.4 26084 f58b06dce1f9c15707c5f808fd002e18c2accf7e)"
	.section	".note.GNU-stack","",@progbits
	.addrsig
	.addrsig_sym slack
	.addrsig_sym min_in_rows
	.addrsig_sym min_in_cols
	.addrsig_sym zeros
	.addrsig_sym zeros_size_b
	.addrsig_sym row_of_star_at_column
	.addrsig_sym column_of_star_at_row
	.addrsig_sym cover_row
	.addrsig_sym cover_column
	.addrsig_sym column_of_prime_at_row
	.addrsig_sym row_of_green_at_column
	.addrsig_sym d_min_in_mat_vect
	.addrsig_sym d_min_in_mat
	.addrsig_sym zeros_size.managed
	.addrsig_sym n_matches.managed
	.addrsig_sym goto_5.managed
	.addrsig_sym repeat_kernel.managed
	.addrsig_sym sdata
	.addrsig_sym zeros_size
	.addrsig_sym n_matches
	.addrsig_sym goto_5
	.addrsig_sym repeat_kernel
	.addrsig_sym __hip_cuid_a74510d1f15ca1c
	.amdgpu_metadata
---
amdhsa.kernels:
  - .args:
      - .offset:         0
        .size:           4
        .value_kind:     hidden_block_count_x
      - .offset:         4
        .size:           4
        .value_kind:     hidden_block_count_y
      - .offset:         8
        .size:           4
        .value_kind:     hidden_block_count_z
      - .offset:         12
        .size:           2
        .value_kind:     hidden_group_size_x
      - .offset:         14
        .size:           2
        .value_kind:     hidden_group_size_y
      - .offset:         16
        .size:           2
        .value_kind:     hidden_group_size_z
      - .offset:         18
        .size:           2
        .value_kind:     hidden_remainder_x
      - .offset:         20
        .size:           2
        .value_kind:     hidden_remainder_y
      - .offset:         22
        .size:           2
        .value_kind:     hidden_remainder_z
      - .offset:         40
        .size:           8
        .value_kind:     hidden_global_offset_x
      - .offset:         48
        .size:           8
        .value_kind:     hidden_global_offset_y
      - .offset:         56
        .size:           8
        .value_kind:     hidden_global_offset_z
      - .offset:         64
        .size:           2
        .value_kind:     hidden_grid_dims
    .group_segment_fixed_size: 0
    .kernarg_segment_align: 8
    .kernarg_segment_size: 256
    .language:       OpenCL C
    .language_version:
      - 2
      - 0
    .max_flat_workgroup_size: 1024
    .name:           _Z4initv
    .private_segment_fixed_size: 0
    .sgpr_count:     8
    .sgpr_spill_count: 0
    .symbol:         _Z4initv.kd
    .uniform_work_group_size: 1
    .uses_dynamic_stack: false
    .vgpr_count:     3
    .vgpr_spill_count: 0
    .wavefront_size: 32
  - .args:           []
    .group_segment_fixed_size: 1024
    .kernarg_segment_align: 4
    .kernarg_segment_size: 0
    .language:       OpenCL C
    .language_version:
      - 2
      - 0
    .max_flat_workgroup_size: 1024
    .name:           _Z16calc_min_in_rowsv
    .private_segment_fixed_size: 0
    .sgpr_count:     8
    .sgpr_spill_count: 0
    .symbol:         _Z16calc_min_in_rowsv.kd
    .uniform_work_group_size: 1
    .uses_dynamic_stack: false
    .vgpr_count:     16
    .vgpr_spill_count: 0
    .wavefront_size: 32
  - .args:           []
    .group_segment_fixed_size: 1024
    .kernarg_segment_align: 4
    .kernarg_segment_size: 0
    .language:       OpenCL C
    .language_version:
      - 2
      - 0
    .max_flat_workgroup_size: 1024
    .name:           _Z16calc_min_in_colsv
    .private_segment_fixed_size: 0
    .sgpr_count:     8
    .sgpr_spill_count: 0
    .symbol:         _Z16calc_min_in_colsv.kd
    .uniform_work_group_size: 1
    .uses_dynamic_stack: false
    .vgpr_count:     7
    .vgpr_spill_count: 0
    .wavefront_size: 32
  - .args:
      - .offset:         0
        .size:           4
        .value_kind:     hidden_block_count_x
      - .offset:         4
        .size:           4
        .value_kind:     hidden_block_count_y
      - .offset:         8
        .size:           4
        .value_kind:     hidden_block_count_z
      - .offset:         12
        .size:           2
        .value_kind:     hidden_group_size_x
      - .offset:         14
        .size:           2
        .value_kind:     hidden_group_size_y
      - .offset:         16
        .size:           2
        .value_kind:     hidden_group_size_z
      - .offset:         18
        .size:           2
        .value_kind:     hidden_remainder_x
      - .offset:         20
        .size:           2
        .value_kind:     hidden_remainder_y
      - .offset:         22
        .size:           2
        .value_kind:     hidden_remainder_z
      - .offset:         40
        .size:           8
        .value_kind:     hidden_global_offset_x
      - .offset:         48
        .size:           8
        .value_kind:     hidden_global_offset_y
      - .offset:         56
        .size:           8
        .value_kind:     hidden_global_offset_z
      - .offset:         64
        .size:           2
        .value_kind:     hidden_grid_dims
    .group_segment_fixed_size: 0
    .kernarg_segment_align: 8
    .kernarg_segment_size: 256
    .language:       OpenCL C
    .language_version:
      - 2
      - 0
    .max_flat_workgroup_size: 1024
    .name:           _Z14step_1_row_subv
    .private_segment_fixed_size: 0
    .sgpr_count:     6
    .sgpr_spill_count: 0
    .symbol:         _Z14step_1_row_subv.kd
    .uniform_work_group_size: 1
    .uses_dynamic_stack: false
    .vgpr_count:     4
    .vgpr_spill_count: 0
    .wavefront_size: 32
  - .args:
      - .offset:         0
        .size:           4
        .value_kind:     hidden_block_count_x
      - .offset:         4
        .size:           4
        .value_kind:     hidden_block_count_y
      - .offset:         8
        .size:           4
        .value_kind:     hidden_block_count_z
      - .offset:         12
        .size:           2
        .value_kind:     hidden_group_size_x
      - .offset:         14
        .size:           2
        .value_kind:     hidden_group_size_y
      - .offset:         16
        .size:           2
        .value_kind:     hidden_group_size_z
      - .offset:         18
        .size:           2
        .value_kind:     hidden_remainder_x
      - .offset:         20
        .size:           2
        .value_kind:     hidden_remainder_y
      - .offset:         22
        .size:           2
        .value_kind:     hidden_remainder_z
      - .offset:         40
        .size:           8
        .value_kind:     hidden_global_offset_x
      - .offset:         48
        .size:           8
        .value_kind:     hidden_global_offset_y
      - .offset:         56
        .size:           8
        .value_kind:     hidden_global_offset_z
      - .offset:         64
        .size:           2
        .value_kind:     hidden_grid_dims
    .group_segment_fixed_size: 0
    .kernarg_segment_align: 8
    .kernarg_segment_size: 256
    .language:       OpenCL C
    .language_version:
      - 2
      - 0
    .max_flat_workgroup_size: 1024
    .name:           _Z14step_1_col_subv
    .private_segment_fixed_size: 0
    .sgpr_count:     6
    .sgpr_spill_count: 0
    .symbol:         _Z14step_1_col_subv.kd
    .uniform_work_group_size: 1
    .uses_dynamic_stack: false
    .vgpr_count:     4
    .vgpr_spill_count: 0
    .wavefront_size: 32
  - .args:
      - .offset:         0
        .size:           4
        .value_kind:     hidden_block_count_x
      - .offset:         4
        .size:           4
        .value_kind:     hidden_block_count_y
      - .offset:         8
        .size:           4
        .value_kind:     hidden_block_count_z
      - .offset:         12
        .size:           2
        .value_kind:     hidden_group_size_x
      - .offset:         14
        .size:           2
        .value_kind:     hidden_group_size_y
      - .offset:         16
        .size:           2
        .value_kind:     hidden_group_size_z
      - .offset:         18
        .size:           2
        .value_kind:     hidden_remainder_x
      - .offset:         20
        .size:           2
        .value_kind:     hidden_remainder_y
      - .offset:         22
        .size:           2
        .value_kind:     hidden_remainder_z
      - .offset:         40
        .size:           8
        .value_kind:     hidden_global_offset_x
      - .offset:         48
        .size:           8
        .value_kind:     hidden_global_offset_y
      - .offset:         56
        .size:           8
        .value_kind:     hidden_global_offset_z
      - .offset:         64
        .size:           2
        .value_kind:     hidden_grid_dims
    .group_segment_fixed_size: 0
    .kernarg_segment_align: 8
    .kernarg_segment_size: 256
    .language:       OpenCL C
    .language_version:
      - 2
      - 0
    .max_flat_workgroup_size: 1024
    .name:           _Z15compress_matrixv
    .private_segment_fixed_size: 0
    .sgpr_count:     6
    .sgpr_spill_count: 0
    .symbol:         _Z15compress_matrixv.kd
    .uniform_work_group_size: 1
    .uses_dynamic_stack: false
    .vgpr_count:     3
    .vgpr_spill_count: 0
    .wavefront_size: 32
  - .args:
      - .offset:         0
        .size:           4
        .value_kind:     hidden_block_count_x
      - .offset:         4
        .size:           4
        .value_kind:     hidden_block_count_y
      - .offset:         8
        .size:           4
        .value_kind:     hidden_block_count_z
      - .offset:         12
        .size:           2
        .value_kind:     hidden_group_size_x
      - .offset:         14
        .size:           2
        .value_kind:     hidden_group_size_y
      - .offset:         16
        .size:           2
        .value_kind:     hidden_group_size_z
      - .offset:         18
        .size:           2
        .value_kind:     hidden_remainder_x
      - .offset:         20
        .size:           2
        .value_kind:     hidden_remainder_y
      - .offset:         22
        .size:           2
        .value_kind:     hidden_remainder_z
      - .offset:         40
        .size:           8
        .value_kind:     hidden_global_offset_x
      - .offset:         48
        .size:           8
        .value_kind:     hidden_global_offset_y
      - .offset:         56
        .size:           8
        .value_kind:     hidden_global_offset_z
      - .offset:         64
        .size:           2
        .value_kind:     hidden_grid_dims
    .group_segment_fixed_size: 2
    .kernarg_segment_align: 8
    .kernarg_segment_size: 256
    .language:       OpenCL C
    .language_version:
      - 2
      - 0
    .max_flat_workgroup_size: 1024
    .name:           _Z6step_2v
    .private_segment_fixed_size: 0
    .sgpr_count:     22
    .sgpr_spill_count: 0
    .symbol:         _Z6step_2v.kd
    .uniform_work_group_size: 1
    .uses_dynamic_stack: false
    .vgpr_count:     14
    .vgpr_spill_count: 0
    .wavefront_size: 32
  - .args:
      - .offset:         0
        .size:           4
        .value_kind:     hidden_block_count_x
      - .offset:         4
        .size:           4
        .value_kind:     hidden_block_count_y
      - .offset:         8
        .size:           4
        .value_kind:     hidden_block_count_z
      - .offset:         12
        .size:           2
        .value_kind:     hidden_group_size_x
      - .offset:         14
        .size:           2
        .value_kind:     hidden_group_size_y
      - .offset:         16
        .size:           2
        .value_kind:     hidden_group_size_z
      - .offset:         18
        .size:           2
        .value_kind:     hidden_remainder_x
      - .offset:         20
        .size:           2
        .value_kind:     hidden_remainder_y
      - .offset:         22
        .size:           2
        .value_kind:     hidden_remainder_z
      - .offset:         40
        .size:           8
        .value_kind:     hidden_global_offset_x
      - .offset:         48
        .size:           8
        .value_kind:     hidden_global_offset_y
      - .offset:         56
        .size:           8
        .value_kind:     hidden_global_offset_z
      - .offset:         64
        .size:           2
        .value_kind:     hidden_grid_dims
    .group_segment_fixed_size: 0
    .kernarg_segment_align: 8
    .kernarg_segment_size: 256
    .language:       OpenCL C
    .language_version:
      - 2
      - 0
    .max_flat_workgroup_size: 1024
    .name:           _Z9step_3iniv
    .private_segment_fixed_size: 0
    .sgpr_count:     6
    .sgpr_spill_count: 0
    .symbol:         _Z9step_3iniv.kd
    .uniform_work_group_size: 1
    .uses_dynamic_stack: false
    .vgpr_count:     2
    .vgpr_spill_count: 0
    .wavefront_size: 32
  - .args:
      - .offset:         0
        .size:           4
        .value_kind:     hidden_block_count_x
      - .offset:         4
        .size:           4
        .value_kind:     hidden_block_count_y
      - .offset:         8
        .size:           4
        .value_kind:     hidden_block_count_z
      - .offset:         12
        .size:           2
        .value_kind:     hidden_group_size_x
      - .offset:         14
        .size:           2
        .value_kind:     hidden_group_size_y
      - .offset:         16
        .size:           2
        .value_kind:     hidden_group_size_z
      - .offset:         18
        .size:           2
        .value_kind:     hidden_remainder_x
      - .offset:         20
        .size:           2
        .value_kind:     hidden_remainder_y
      - .offset:         22
        .size:           2
        .value_kind:     hidden_remainder_z
      - .offset:         40
        .size:           8
        .value_kind:     hidden_global_offset_x
      - .offset:         48
        .size:           8
        .value_kind:     hidden_global_offset_y
      - .offset:         56
        .size:           8
        .value_kind:     hidden_global_offset_z
      - .offset:         64
        .size:           2
        .value_kind:     hidden_grid_dims
    .group_segment_fixed_size: 0
    .kernarg_segment_align: 8
    .kernarg_segment_size: 256
    .language:       OpenCL C
    .language_version:
      - 2
      - 0
    .max_flat_workgroup_size: 1024
    .name:           _Z6step_3v
    .private_segment_fixed_size: 0
    .sgpr_count:     8
    .sgpr_spill_count: 0
    .symbol:         _Z6step_3v.kd
    .uniform_work_group_size: 1
    .uses_dynamic_stack: false
    .vgpr_count:     4
    .vgpr_spill_count: 0
    .wavefront_size: 32
  - .args:
      - .offset:         0
        .size:           4
        .value_kind:     hidden_block_count_x
      - .offset:         4
        .size:           4
        .value_kind:     hidden_block_count_y
      - .offset:         8
        .size:           4
        .value_kind:     hidden_block_count_z
      - .offset:         12
        .size:           2
        .value_kind:     hidden_group_size_x
      - .offset:         14
        .size:           2
        .value_kind:     hidden_group_size_y
      - .offset:         16
        .size:           2
        .value_kind:     hidden_group_size_z
      - .offset:         18
        .size:           2
        .value_kind:     hidden_remainder_x
      - .offset:         20
        .size:           2
        .value_kind:     hidden_remainder_y
      - .offset:         22
        .size:           2
        .value_kind:     hidden_remainder_z
      - .offset:         40
        .size:           8
        .value_kind:     hidden_global_offset_x
      - .offset:         48
        .size:           8
        .value_kind:     hidden_global_offset_y
      - .offset:         56
        .size:           8
        .value_kind:     hidden_global_offset_z
      - .offset:         64
        .size:           2
        .value_kind:     hidden_grid_dims
    .group_segment_fixed_size: 0
    .kernarg_segment_align: 8
    .kernarg_segment_size: 256
    .language:       OpenCL C
    .language_version:
      - 2
      - 0
    .max_flat_workgroup_size: 1024
    .name:           _Z11step_4_initv
    .private_segment_fixed_size: 0
    .sgpr_count:     6
    .sgpr_spill_count: 0
    .symbol:         _Z11step_4_initv.kd
    .uniform_work_group_size: 1
    .uses_dynamic_stack: false
    .vgpr_count:     2
    .vgpr_spill_count: 0
    .wavefront_size: 32
  - .args:
      - .offset:         0
        .size:           4
        .value_kind:     hidden_block_count_x
      - .offset:         4
        .size:           4
        .value_kind:     hidden_block_count_y
      - .offset:         8
        .size:           4
        .value_kind:     hidden_block_count_z
      - .offset:         12
        .size:           2
        .value_kind:     hidden_group_size_x
      - .offset:         14
        .size:           2
        .value_kind:     hidden_group_size_y
      - .offset:         16
        .size:           2
        .value_kind:     hidden_group_size_z
      - .offset:         18
        .size:           2
        .value_kind:     hidden_remainder_x
      - .offset:         20
        .size:           2
        .value_kind:     hidden_remainder_y
      - .offset:         22
        .size:           2
        .value_kind:     hidden_remainder_z
      - .offset:         40
        .size:           8
        .value_kind:     hidden_global_offset_x
      - .offset:         48
        .size:           8
        .value_kind:     hidden_global_offset_y
      - .offset:         56
        .size:           8
        .value_kind:     hidden_global_offset_z
      - .offset:         64
        .size:           2
        .value_kind:     hidden_grid_dims
    .group_segment_fixed_size: 3
    .kernarg_segment_align: 8
    .kernarg_segment_size: 256
    .language:       OpenCL C
    .language_version:
      - 2
      - 0
    .max_flat_workgroup_size: 1024
    .name:           _Z6step_4v
    .private_segment_fixed_size: 0
    .sgpr_count:     22
    .sgpr_spill_count: 0
    .symbol:         _Z6step_4v.kd
    .uniform_work_group_size: 1
    .uses_dynamic_stack: false
    .vgpr_count:     16
    .vgpr_spill_count: 0
    .wavefront_size: 32
  - .args:
      - .offset:         0
        .size:           4
        .value_kind:     hidden_block_count_x
      - .offset:         4
        .size:           4
        .value_kind:     hidden_block_count_y
      - .offset:         8
        .size:           4
        .value_kind:     hidden_block_count_z
      - .offset:         12
        .size:           2
        .value_kind:     hidden_group_size_x
      - .offset:         14
        .size:           2
        .value_kind:     hidden_group_size_y
      - .offset:         16
        .size:           2
        .value_kind:     hidden_group_size_z
      - .offset:         18
        .size:           2
        .value_kind:     hidden_remainder_x
      - .offset:         20
        .size:           2
        .value_kind:     hidden_remainder_y
      - .offset:         22
        .size:           2
        .value_kind:     hidden_remainder_z
      - .offset:         40
        .size:           8
        .value_kind:     hidden_global_offset_x
      - .offset:         48
        .size:           8
        .value_kind:     hidden_global_offset_y
      - .offset:         56
        .size:           8
        .value_kind:     hidden_global_offset_z
      - .offset:         64
        .size:           2
        .value_kind:     hidden_grid_dims
    .group_segment_fixed_size: 0
    .kernarg_segment_align: 8
    .kernarg_segment_size: 256
    .language:       OpenCL C
    .language_version:
      - 2
      - 0
    .max_flat_workgroup_size: 1024
    .name:           _Z7step_5av
    .private_segment_fixed_size: 0
    .sgpr_count:     9
    .sgpr_spill_count: 0
    .symbol:         _Z7step_5av.kd
    .uniform_work_group_size: 1
    .uses_dynamic_stack: false
    .vgpr_count:     6
    .vgpr_spill_count: 0
    .wavefront_size: 32
  - .args:
      - .offset:         0
        .size:           4
        .value_kind:     hidden_block_count_x
      - .offset:         4
        .size:           4
        .value_kind:     hidden_block_count_y
      - .offset:         8
        .size:           4
        .value_kind:     hidden_block_count_z
      - .offset:         12
        .size:           2
        .value_kind:     hidden_group_size_x
      - .offset:         14
        .size:           2
        .value_kind:     hidden_group_size_y
      - .offset:         16
        .size:           2
        .value_kind:     hidden_group_size_z
      - .offset:         18
        .size:           2
        .value_kind:     hidden_remainder_x
      - .offset:         20
        .size:           2
        .value_kind:     hidden_remainder_y
      - .offset:         22
        .size:           2
        .value_kind:     hidden_remainder_z
      - .offset:         40
        .size:           8
        .value_kind:     hidden_global_offset_x
      - .offset:         48
        .size:           8
        .value_kind:     hidden_global_offset_y
      - .offset:         56
        .size:           8
        .value_kind:     hidden_global_offset_z
      - .offset:         64
        .size:           2
        .value_kind:     hidden_grid_dims
    .group_segment_fixed_size: 0
    .kernarg_segment_align: 8
    .kernarg_segment_size: 256
    .language:       OpenCL C
    .language_version:
      - 2
      - 0
    .max_flat_workgroup_size: 1024
    .name:           _Z7step_5bv
    .private_segment_fixed_size: 0
    .sgpr_count:     9
    .sgpr_spill_count: 0
    .symbol:         _Z7step_5bv.kd
    .uniform_work_group_size: 1
    .uses_dynamic_stack: false
    .vgpr_count:     5
    .vgpr_spill_count: 0
    .wavefront_size: 32
  - .args:
      - .offset:         0
        .size:           4
        .value_kind:     hidden_block_count_x
      - .offset:         4
        .size:           4
        .value_kind:     hidden_block_count_y
      - .offset:         8
        .size:           4
        .value_kind:     hidden_block_count_z
      - .offset:         12
        .size:           2
        .value_kind:     hidden_group_size_x
      - .offset:         14
        .size:           2
        .value_kind:     hidden_group_size_y
      - .offset:         16
        .size:           2
        .value_kind:     hidden_group_size_z
      - .offset:         18
        .size:           2
        .value_kind:     hidden_remainder_x
      - .offset:         20
        .size:           2
        .value_kind:     hidden_remainder_y
      - .offset:         22
        .size:           2
        .value_kind:     hidden_remainder_z
      - .offset:         40
        .size:           8
        .value_kind:     hidden_global_offset_x
      - .offset:         48
        .size:           8
        .value_kind:     hidden_global_offset_y
      - .offset:         56
        .size:           8
        .value_kind:     hidden_global_offset_z
      - .offset:         64
        .size:           2
        .value_kind:     hidden_grid_dims
    .group_segment_fixed_size: 0
    .kernarg_segment_align: 8
    .kernarg_segment_size: 256
    .language:       OpenCL C
    .language_version:
      - 2
      - 0
    .max_flat_workgroup_size: 1024
    .name:           _Z14step_6_add_subv
    .private_segment_fixed_size: 0
    .sgpr_count:     8
    .sgpr_spill_count: 0
    .symbol:         _Z14step_6_add_subv.kd
    .uniform_work_group_size: 1
    .uses_dynamic_stack: false
    .vgpr_count:     3
    .vgpr_spill_count: 0
    .wavefront_size: 32
  - .args:
      - .offset:         0
        .size:           4
        .value_kind:     hidden_block_count_x
      - .offset:         4
        .size:           4
        .value_kind:     hidden_block_count_y
      - .offset:         8
        .size:           4
        .value_kind:     hidden_block_count_z
      - .offset:         12
        .size:           2
        .value_kind:     hidden_group_size_x
      - .offset:         14
        .size:           2
        .value_kind:     hidden_group_size_y
      - .offset:         16
        .size:           2
        .value_kind:     hidden_group_size_z
      - .offset:         18
        .size:           2
        .value_kind:     hidden_remainder_x
      - .offset:         20
        .size:           2
        .value_kind:     hidden_remainder_y
      - .offset:         22
        .size:           2
        .value_kind:     hidden_remainder_z
      - .offset:         40
        .size:           8
        .value_kind:     hidden_global_offset_x
      - .offset:         48
        .size:           8
        .value_kind:     hidden_global_offset_y
      - .offset:         56
        .size:           8
        .value_kind:     hidden_global_offset_z
      - .offset:         64
        .size:           2
        .value_kind:     hidden_grid_dims
      - .offset:         120
        .size:           4
        .value_kind:     hidden_dynamic_lds_size
    .group_segment_fixed_size: 0
    .kernarg_segment_align: 8
    .kernarg_segment_size: 256
    .language:       OpenCL C
    .language_version:
      - 2
      - 0
    .max_flat_workgroup_size: 1024
    .name:           _Z18min_reduce_kernel1v
    .private_segment_fixed_size: 0
    .sgpr_count:     16
    .sgpr_spill_count: 0
    .symbol:         _Z18min_reduce_kernel1v.kd
    .uniform_work_group_size: 1
    .uses_dynamic_stack: false
    .vgpr_count:     7
    .vgpr_spill_count: 0
    .wavefront_size: 32
  - .args:           []
    .group_segment_fixed_size: 0
    .kernarg_segment_align: 4
    .kernarg_segment_size: 0
    .language:       OpenCL C
    .language_version:
      - 2
      - 0
    .max_flat_workgroup_size: 1024
    .name:           _Z18min_reduce_kernel2v
    .private_segment_fixed_size: 0
    .sgpr_count:     4
    .sgpr_spill_count: 0
    .symbol:         _Z18min_reduce_kernel2v.kd
    .uniform_work_group_size: 1
    .uses_dynamic_stack: false
    .vgpr_count:     7
    .vgpr_spill_count: 0
    .wavefront_size: 32
amdhsa.target:   amdgcn-amd-amdhsa--gfx1250
amdhsa.version:
  - 1
  - 2
...

	.end_amdgpu_metadata
